;; amdgpu-corpus repo=ROCm/rocFFT kind=compiled arch=gfx1030 opt=O3
	.text
	.amdgcn_target "amdgcn-amd-amdhsa--gfx1030"
	.amdhsa_code_object_version 6
	.protected	bluestein_single_back_len1512_dim1_dp_op_CI_CI ; -- Begin function bluestein_single_back_len1512_dim1_dp_op_CI_CI
	.globl	bluestein_single_back_len1512_dim1_dp_op_CI_CI
	.p2align	8
	.type	bluestein_single_back_len1512_dim1_dp_op_CI_CI,@function
bluestein_single_back_len1512_dim1_dp_op_CI_CI: ; @bluestein_single_back_len1512_dim1_dp_op_CI_CI
; %bb.0:
	s_load_dwordx4 s[8:11], s[4:5], 0x28
	v_mul_u32_u24_e32 v1, 0x411, v0
	s_mov_b64 s[30:31], s[2:3]
	s_mov_b64 s[28:29], s[0:1]
	v_mov_b32_e32 v7, 0
	s_add_u32 s28, s28, s7
	v_lshrrev_b32_e32 v1, 16, v1
	s_addc_u32 s29, s29, 0
	s_mov_b32 s0, exec_lo
	v_add_nc_u32_e32 v6, s6, v1
	s_waitcnt lgkmcnt(0)
	v_cmpx_gt_u64_e64 s[8:9], v[6:7]
	s_cbranch_execz .LBB0_10
; %bb.1:
	s_clause 0x1
	s_load_dwordx4 s[0:3], s[4:5], 0x18
	s_load_dwordx4 s[12:15], s[4:5], 0x0
	v_mul_lo_u16 v1, v1, 63
	v_mov_b32_e32 v17, v6
	v_sub_nc_u16 v96, v0, v1
	v_mov_b32_e32 v16, v17
	v_and_b32_e32 v113, 0xffff, v96
	v_lshlrev_b32_e32 v112, 4, v113
	v_lshlrev_b32_e32 v104, 1, v113
	v_add_nc_u32_e32 v105, 0x2b5, v113
	s_waitcnt lgkmcnt(0)
	s_load_dwordx4 s[16:19], s[0:1], 0x0
	s_clause 0x2
	global_load_dwordx4 v[147:150], v112, s[12:13]
	global_load_dwordx4 v[142:145], v112, s[12:13] offset:1008
	global_load_dwordx4 v[138:141], v112, s[12:13] offset:2016
	v_add_co_u32 v2, s0, s12, v112
	v_add_co_ci_u32_e64 v3, null, s13, 0, s0
	v_add_co_u32 v101, null, 0x7e, v113
	v_add_co_u32 v0, vcc_lo, 0x2800, v2
	v_add_co_ci_u32_e32 v1, vcc_lo, 0, v3, vcc_lo
	v_add_co_u32 v4, vcc_lo, 0x3000, v2
	v_add_co_ci_u32_e32 v5, vcc_lo, 0, v3, vcc_lo
	;; [unrolled: 2-line block ×3, first 2 shown]
	s_waitcnt lgkmcnt(0)
	v_mad_u64_u32 v[6:7], null, s18, v17, 0
	buffer_store_dword v16, off, s[28:31], 0 offset:48 ; 4-byte Folded Spill
	buffer_store_dword v17, off, s[28:31], 0 offset:52 ; 4-byte Folded Spill
	v_mad_u64_u32 v[10:11], null, s16, v113, 0
	v_add_co_u32 v12, vcc_lo, 0x3800, v2
	v_add_co_ci_u32_e32 v13, vcc_lo, 0, v3, vcc_lo
	v_add_co_u32 v14, vcc_lo, 0x1000, v2
	v_mad_u64_u32 v[19:20], null, s17, v113, v[11:12]
	s_clause 0x2
	global_load_dwordx4 v[233:236], v[0:1], off offset:1856
	global_load_dwordx4 v[229:232], v[4:5], off offset:816
	;; [unrolled: 1-line block ×3, first 2 shown]
	v_add_co_ci_u32_e32 v15, vcc_lo, 0, v3, vcc_lo
	s_mul_i32 s6, s17, 0x2f40
	s_mul_hi_u32 s7, s16, 0x2f40
	s_mul_i32 s0, s16, 0x2f40
	v_mov_b32_e32 v11, v19
	s_add_i32 s6, s7, s6
	s_clause 0x5
	global_load_dwordx4 v[217:220], v[8:9], off offset:976
	global_load_dwordx4 v[201:204], v[8:9], off offset:1984
	;; [unrolled: 1-line block ×6, first 2 shown]
	s_mul_hi_u32 s9, s16, 0xffffd4b0
	s_mul_i32 s8, s17, 0xffffd4b0
	s_mul_i32 s1, s16, 0xffffd4b0
	s_sub_i32 s7, s9, s16
	v_add_co_u32 v114, null, 0xbd, v113
	s_add_i32 s7, s7, s8
	v_add_co_u32 v100, null, 0xfc, v113
	v_add_co_u32 v99, null, 0x13b, v113
	v_add_nc_u32_e32 v107, 0x237, v113
	v_add_nc_u32_e32 v108, 0x276, v113
	v_and_b32_e32 v106, 1, v113
	v_add_nc_u32_e32 v109, 0x3f0, v104
	v_lshlrev_b32_e32 v115, 5, v113
	v_lshlrev_b32_e32 v244, 5, v101
	;; [unrolled: 1-line block ×8, first 2 shown]
	v_mad_u64_u32 v[16:17], null, s19, v17, v[7:8]
	v_add_co_u32 v17, vcc_lo, 0x4000, v2
	v_add_co_ci_u32_e32 v18, vcc_lo, 0, v3, vcc_lo
	s_clause 0x1
	global_load_dwordx4 v[197:200], v[17:18], off offset:752
	global_load_dwordx4 v[185:188], v[17:18], off offset:1760
	v_mov_b32_e32 v7, v16
	v_lshlrev_b64 v[4:5], 4, v[6:7]
	v_lshlrev_b64 v[6:7], 4, v[10:11]
	v_add_co_u32 v4, vcc_lo, s10, v4
	v_add_co_ci_u32_e32 v5, vcc_lo, s11, v5, vcc_lo
	v_add_co_u32 v4, vcc_lo, v4, v6
	v_add_co_ci_u32_e32 v5, vcc_lo, v5, v7, vcc_lo
	;; [unrolled: 2-line block ×3, first 2 shown]
	s_clause 0x1
	global_load_dwordx4 v[36:39], v[4:5], off
	global_load_dwordx4 v[60:63], v[6:7], off
	v_add_co_u32 v10, vcc_lo, v6, s1
	v_add_co_ci_u32_e32 v11, vcc_lo, s7, v7, vcc_lo
	v_add_co_u32 v8, vcc_lo, v10, s0
	v_add_co_ci_u32_e32 v9, vcc_lo, s6, v11, vcc_lo
	s_clause 0x1
	global_load_dwordx4 v[76:79], v[10:11], off
	global_load_dwordx4 v[64:67], v[8:9], off
	v_add_co_u32 v12, vcc_lo, v8, s1
	v_add_co_ci_u32_e32 v13, vcc_lo, s7, v9, vcc_lo
	v_add_co_u32 v14, vcc_lo, v12, s0
	v_add_co_ci_u32_e32 v15, vcc_lo, s6, v13, vcc_lo
	global_load_dwordx4 v[68:71], v[12:13], off
	v_add_co_u32 v16, vcc_lo, v14, s1
	v_add_co_ci_u32_e32 v17, vcc_lo, s7, v15, vcc_lo
	global_load_dwordx4 v[72:75], v[14:15], off
	;; [unrolled: 3-line block ×6, first 2 shown]
	v_add_co_u32 v12, vcc_lo, v10, s0
	v_add_co_ci_u32_e32 v13, vcc_lo, s6, v11, vcc_lo
	v_add_co_u32 v4, vcc_lo, v12, s1
	v_add_co_ci_u32_e32 v5, vcc_lo, s7, v13, vcc_lo
	;; [unrolled: 2-line block ×4, first 2 shown]
	global_load_dwordx4 v[88:91], v[10:11], off
	global_load_dwordx4 v[92:95], v[12:13], off
	;; [unrolled: 1-line block ×5, first 2 shown]
	v_add_co_u32 v4, vcc_lo, v8, s0
	v_add_co_ci_u32_e32 v5, vcc_lo, s6, v9, vcc_lo
	v_add_co_u32 v6, vcc_lo, 0x1800, v2
	v_add_co_ci_u32_e32 v7, vcc_lo, 0, v3, vcc_lo
	global_load_dwordx4 v[32:35], v[4:5], off
	v_add_co_u32 v4, vcc_lo, v4, s1
	v_add_co_ci_u32_e32 v5, vcc_lo, s7, v5, vcc_lo
	v_add_co_u32 v8, vcc_lo, 0x4800, v2
	v_add_co_ci_u32_e32 v9, vcc_lo, 0, v3, vcc_lo
	;; [unrolled: 2-line block ×3, first 2 shown]
	global_load_dwordx4 v[28:31], v[4:5], off
	v_add_co_u32 v4, vcc_lo, v10, s1
	v_add_co_ci_u32_e32 v5, vcc_lo, s7, v11, vcc_lo
	s_clause 0x1
	global_load_dwordx4 v[225:228], v[6:7], off offset:912
	global_load_dwordx4 v[189:192], v[6:7], off offset:1920
	global_load_dwordx4 v[24:27], v[10:11], off
	s_clause 0x1
	global_load_dwordx4 v[209:212], v[8:9], off offset:720
	global_load_dwordx4 v[181:184], v[8:9], off offset:1728
	global_load_dwordx4 v[20:23], v[4:5], off
	v_add_co_u32 v4, vcc_lo, v4, s0
	v_add_co_ci_u32_e32 v5, vcc_lo, s6, v5, vcc_lo
	v_add_co_u32 v6, vcc_lo, 0x2000, v2
	v_add_co_ci_u32_e32 v7, vcc_lo, 0, v3, vcc_lo
	global_load_dwordx4 v[12:15], v[4:5], off
	v_add_co_u32 v4, vcc_lo, v4, s1
	v_add_co_ci_u32_e32 v5, vcc_lo, s7, v5, vcc_lo
	v_add_co_u32 v8, vcc_lo, 0x5000, v2
	v_add_co_ci_u32_e32 v9, vcc_lo, 0, v3, vcc_lo
	;; [unrolled: 2-line block ×3, first 2 shown]
	global_load_dwordx4 v[157:160], v[8:9], off offset:688
	global_load_dwordx4 v[16:19], v[4:5], off
	s_clause 0x1
	global_load_dwordx4 v[173:176], v[6:7], off offset:880
	global_load_dwordx4 v[153:156], v[6:7], off offset:1888
	global_load_dwordx4 v[4:7], v[10:11], off
	v_add_co_u32 v10, vcc_lo, v10, s1
	v_add_co_ci_u32_e32 v11, vcc_lo, s7, v11, vcc_lo
	v_add_co_u32 v2, vcc_lo, 0x5800, v2
	v_add_co_ci_u32_e32 v3, vcc_lo, 0, v3, vcc_lo
	;; [unrolled: 2-line block ×3, first 2 shown]
	global_load_dwordx4 v[165:168], v[8:9], off offset:1696
	global_load_dwordx4 v[8:11], v[10:11], off
	s_clause 0x1
	global_load_dwordx4 v[169:172], v[0:1], off offset:848
	global_load_dwordx4 v[161:164], v[2:3], off offset:656
	global_load_dwordx4 v[0:3], v[97:98], off
	s_load_dwordx4 s[8:11], s[2:3], 0x0
	v_add_co_u32 v102, s0, v113, 63
	v_add_co_u32 v98, null, 0x17a, v113
	v_add_co_u32 v97, null, 0x1b9, v113
	v_lshlrev_b32_e32 v151, 5, v102
	v_lshlrev_b32_e32 v240, 5, v98
	v_add_co_ci_u32_e64 v103, null, 0, 0, s0
	v_lshlrev_b32_e32 v239, 5, v97
	s_mov_b32 s0, 0xe8584caa
	s_mov_b32 s1, 0x3febb67a
	;; [unrolled: 1-line block ×4, first 2 shown]
	v_cmp_gt_u16_e32 vcc_lo, 9, v96
	s_waitcnt vmcnt(33)
	v_mul_f64 v[110:111], v[38:39], v[149:150]
	s_waitcnt vmcnt(32)
	v_mul_f64 v[118:119], v[62:63], v[235:236]
	v_mul_f64 v[116:117], v[36:37], v[149:150]
	;; [unrolled: 1-line block ×3, first 2 shown]
	s_waitcnt vmcnt(31)
	v_mul_f64 v[122:123], v[78:79], v[144:145]
	s_waitcnt vmcnt(30)
	v_mul_f64 v[126:127], v[66:67], v[231:232]
	v_mul_f64 v[124:125], v[76:77], v[144:145]
	;; [unrolled: 1-line block ×3, first 2 shown]
	v_fma_f64 v[36:37], v[36:37], v[147:148], v[110:111]
	buffer_store_dword v147, off, s[28:31], 0 offset:32 ; 4-byte Folded Spill
	buffer_store_dword v148, off, s[28:31], 0 offset:36 ; 4-byte Folded Spill
	;; [unrolled: 1-line block ×4, first 2 shown]
	v_fma_f64 v[60:61], v[60:61], v[233:234], v[118:119]
	buffer_store_dword v233, off, s[28:31], 0 offset:376 ; 4-byte Folded Spill
	buffer_store_dword v234, off, s[28:31], 0 offset:380 ; 4-byte Folded Spill
	;; [unrolled: 1-line block ×4, first 2 shown]
	s_waitcnt vmcnt(29)
	v_mul_f64 v[130:131], v[70:71], v[140:141]
	v_mul_f64 v[132:133], v[68:69], v[140:141]
	s_waitcnt vmcnt(28)
	v_mul_f64 v[134:135], v[74:75], v[215:216]
	v_mul_f64 v[136:137], v[72:73], v[215:216]
	s_waitcnt vmcnt(27)
	v_mul_f64 v[110:111], v[46:47], v[219:220]
	v_fma_f64 v[76:77], v[76:77], v[142:143], v[122:123]
	buffer_store_dword v142, off, s[28:31], 0 offset:16 ; 4-byte Folded Spill
	buffer_store_dword v143, off, s[28:31], 0 offset:20 ; 4-byte Folded Spill
	;; [unrolled: 1-line block ×4, first 2 shown]
	v_fma_f64 v[64:65], v[64:65], v[229:230], v[126:127]
	buffer_store_dword v229, off, s[28:31], 0 offset:360 ; 4-byte Folded Spill
	buffer_store_dword v230, off, s[28:31], 0 offset:364 ; 4-byte Folded Spill
	;; [unrolled: 1-line block ×4, first 2 shown]
	s_waitcnt vmcnt(26)
	v_mul_f64 v[118:119], v[50:51], v[223:224]
	s_waitcnt vmcnt(25)
	v_mul_f64 v[122:123], v[54:55], v[203:204]
	v_fma_f64 v[68:69], v[68:69], v[138:139], v[130:131]
	buffer_store_dword v138, off, s[28:31], 0 ; 4-byte Folded Spill
	buffer_store_dword v139, off, s[28:31], 0 offset:4 ; 4-byte Folded Spill
	buffer_store_dword v140, off, s[28:31], 0 offset:8 ; 4-byte Folded Spill
	;; [unrolled: 1-line block ×3, first 2 shown]
	v_fma_f64 v[72:73], v[72:73], v[213:214], v[134:135]
	buffer_store_dword v213, off, s[28:31], 0 offset:296 ; 4-byte Folded Spill
	buffer_store_dword v214, off, s[28:31], 0 offset:300 ; 4-byte Folded Spill
	;; [unrolled: 1-line block ×4, first 2 shown]
	s_waitcnt vmcnt(24)
	v_mul_f64 v[126:127], v[58:59], v[207:208]
	s_waitcnt vmcnt(23)
	v_mul_f64 v[130:131], v[90:91], v[195:196]
	;; [unrolled: 2-line block ×5, first 2 shown]
	v_fma_f64 v[38:39], v[38:39], v[147:148], -v[116:117]
	v_mul_f64 v[116:117], v[44:45], v[219:220]
	v_fma_f64 v[44:45], v[44:45], v[217:218], v[110:111]
	buffer_store_dword v217, off, s[28:31], 0 offset:312 ; 4-byte Folded Spill
	buffer_store_dword v218, off, s[28:31], 0 offset:316 ; 4-byte Folded Spill
	buffer_store_dword v219, off, s[28:31], 0 offset:320 ; 4-byte Folded Spill
	buffer_store_dword v220, off, s[28:31], 0 offset:324 ; 4-byte Folded Spill
	v_fma_f64 v[62:63], v[62:63], v[233:234], -v[120:121]
	v_mul_f64 v[120:121], v[48:49], v[223:224]
	v_fma_f64 v[48:49], v[48:49], v[221:222], v[118:119]
	buffer_store_dword v221, off, s[28:31], 0 offset:328 ; 4-byte Folded Spill
	buffer_store_dword v222, off, s[28:31], 0 offset:332 ; 4-byte Folded Spill
	;; [unrolled: 1-line block ×4, first 2 shown]
	v_mul_f64 v[110:111], v[82:83], v[187:188]
	v_lshlrev_b32_e32 v147, 4, v109
	v_fma_f64 v[78:79], v[78:79], v[142:143], -v[124:125]
	v_mul_f64 v[124:125], v[52:53], v[203:204]
	v_fma_f64 v[52:53], v[52:53], v[201:202], v[122:123]
	buffer_store_dword v201, off, s[28:31], 0 offset:248 ; 4-byte Folded Spill
	buffer_store_dword v202, off, s[28:31], 0 offset:252 ; 4-byte Folded Spill
	;; [unrolled: 1-line block ×4, first 2 shown]
	v_fma_f64 v[66:67], v[66:67], v[229:230], -v[128:129]
	v_mul_f64 v[128:129], v[56:57], v[207:208]
	v_fma_f64 v[56:57], v[56:57], v[205:206], v[126:127]
	buffer_store_dword v205, off, s[28:31], 0 offset:264 ; 4-byte Folded Spill
	buffer_store_dword v206, off, s[28:31], 0 offset:268 ; 4-byte Folded Spill
	;; [unrolled: 1-line block ×4, first 2 shown]
	v_mul_f64 v[142:143], v[80:81], v[187:188]
	s_waitcnt vmcnt(13)
	v_mul_f64 v[122:123], v[34:35], v[211:212]
	v_mul_f64 v[126:127], v[30:31], v[191:192]
	v_and_b32_e32 v207, 7, v97
	v_fma_f64 v[70:71], v[70:71], v[138:139], -v[132:133]
	v_mul_f64 v[138:139], v[86:87], v[179:180]
	v_fma_f64 v[74:75], v[74:75], v[213:214], -v[136:137]
	v_mul_f64 v[132:133], v[88:89], v[195:196]
	v_mul_f64 v[136:137], v[92:93], v[199:200]
	v_fma_f64 v[88:89], v[88:89], v[193:194], v[130:131]
	buffer_store_dword v193, off, s[28:31], 0 offset:216 ; 4-byte Folded Spill
	buffer_store_dword v194, off, s[28:31], 0 offset:220 ; 4-byte Folded Spill
	;; [unrolled: 1-line block ×4, first 2 shown]
	v_fma_f64 v[92:93], v[92:93], v[197:198], v[134:135]
	buffer_store_dword v197, off, s[28:31], 0 offset:232 ; 4-byte Folded Spill
	buffer_store_dword v198, off, s[28:31], 0 offset:236 ; 4-byte Folded Spill
	;; [unrolled: 1-line block ×4, first 2 shown]
	s_waitcnt vmcnt(12)
	v_mul_f64 v[130:131], v[26:27], v[183:184]
	s_waitcnt vmcnt(9)
	v_mul_f64 v[134:135], v[12:13], v[159:160]
	v_fma_f64 v[84:85], v[84:85], v[177:178], v[138:139]
	buffer_store_dword v177, off, s[28:31], 0 offset:152 ; 4-byte Folded Spill
	buffer_store_dword v178, off, s[28:31], 0 offset:156 ; 4-byte Folded Spill
	;; [unrolled: 1-line block ×4, first 2 shown]
	s_waitcnt vmcnt(2)
	v_mul_f64 v[138:139], v[8:9], v[171:172]
	v_fma_f64 v[46:47], v[46:47], v[217:218], -v[116:117]
	v_fma_f64 v[116:117], v[80:81], v[185:186], v[110:111]
	buffer_store_dword v185, off, s[28:31], 0 offset:184 ; 4-byte Folded Spill
	buffer_store_dword v186, off, s[28:31], 0 offset:188 ; 4-byte Folded Spill
	;; [unrolled: 1-line block ×4, first 2 shown]
	v_mul_f64 v[110:111], v[20:21], v[175:176]
	v_fma_f64 v[50:51], v[50:51], v[221:222], -v[120:121]
	v_mul_f64 v[120:121], v[42:43], v[227:228]
	v_and_b32_e32 v80, 1, v105
	v_and_b32_e32 v81, 1, v114
	;; [unrolled: 1-line block ×4, first 2 shown]
	v_lshlrev_b32_e32 v152, 4, v80
	v_fma_f64 v[54:55], v[54:55], v[201:202], -v[124:125]
	v_mul_f64 v[124:125], v[32:33], v[211:212]
	v_fma_f64 v[32:33], v[32:33], v[209:210], v[122:123]
	v_mul_f64 v[122:123], v[18:19], v[155:156]
	v_fma_f64 v[58:59], v[58:59], v[205:206], -v[128:129]
	v_mul_f64 v[128:129], v[28:29], v[191:192]
	v_fma_f64 v[28:29], v[28:29], v[189:190], v[126:127]
	v_mul_f64 v[126:127], v[6:7], v[167:168]
	v_and_b32_e32 v206, 7, v98
	v_fma_f64 v[40:41], v[40:41], v[225:226], v[120:121]
	buffer_store_dword v225, off, s[28:31], 0 offset:344 ; 4-byte Folded Spill
	buffer_store_dword v226, off, s[28:31], 0 offset:348 ; 4-byte Folded Spill
	buffer_store_dword v227, off, s[28:31], 0 offset:352 ; 4-byte Folded Spill
	buffer_store_dword v228, off, s[28:31], 0 offset:356 ; 4-byte Folded Spill
	buffer_store_dword v209, off, s[28:31], 0 offset:280 ; 4-byte Folded Spill
	buffer_store_dword v210, off, s[28:31], 0 offset:284 ; 4-byte Folded Spill
	buffer_store_dword v211, off, s[28:31], 0 offset:288 ; 4-byte Folded Spill
	buffer_store_dword v212, off, s[28:31], 0 offset:292 ; 4-byte Folded Spill
	buffer_store_dword v189, off, s[28:31], 0 offset:200 ; 4-byte Folded Spill
	buffer_store_dword v190, off, s[28:31], 0 offset:204 ; 4-byte Folded Spill
	buffer_store_dword v191, off, s[28:31], 0 offset:208 ; 4-byte Folded Spill
	buffer_store_dword v192, off, s[28:31], 0 offset:212 ; 4-byte Folded Spill
	v_mul_f64 v[120:121], v[14:15], v[159:160]
	v_fma_f64 v[94:95], v[94:95], v[197:198], -v[136:137]
	v_mul_f64 v[136:137], v[10:11], v[171:172]
	v_fma_f64 v[90:91], v[90:91], v[193:194], -v[132:133]
	v_mul_f64 v[132:133], v[24:25], v[183:184]
	ds_write_b128 v112, v[36:39]
	ds_write_b128 v112, v[60:63] offset:12096
	v_fma_f64 v[24:25], v[24:25], v[181:182], v[130:131]
	buffer_store_dword v181, off, s[28:31], 0 offset:168 ; 4-byte Folded Spill
	buffer_store_dword v182, off, s[28:31], 0 offset:172 ; 4-byte Folded Spill
	;; [unrolled: 1-line block ×4, first 2 shown]
	v_and_b32_e32 v184, 3, v102
	v_fma_f64 v[86:87], v[86:87], v[177:178], -v[140:141]
	s_waitcnt vmcnt(0)
	v_mul_f64 v[140:141], v[2:3], v[163:164]
	v_fma_f64 v[12:13], v[12:13], v[157:158], v[120:121]
	v_fma_f64 v[8:9], v[8:9], v[169:170], v[136:137]
	v_and_b32_e32 v136, 1, v102
	v_fma_f64 v[118:119], v[82:83], v[185:186], -v[142:143]
	v_mul_f64 v[82:83], v[22:23], v[175:176]
	v_mul_f64 v[142:143], v[0:1], v[163:164]
	v_fma_f64 v[0:1], v[0:1], v[161:162], v[140:141]
	v_and_b32_e32 v185, 3, v101
	v_and_b32_e32 v186, 3, v99
	v_fma_f64 v[20:21], v[20:21], v[173:174], v[82:83]
	buffer_store_dword v173, off, s[28:31], 0 offset:136 ; 4-byte Folded Spill
	buffer_store_dword v174, off, s[28:31], 0 offset:140 ; 4-byte Folded Spill
	;; [unrolled: 1-line block ×8, first 2 shown]
	v_fma_f64 v[42:43], v[42:43], v[225:226], -v[144:145]
	v_fma_f64 v[34:35], v[34:35], v[209:210], -v[124:125]
	v_mul_f64 v[124:125], v[16:17], v[155:156]
	v_fma_f64 v[16:17], v[16:17], v[153:154], v[122:123]
	buffer_store_dword v153, off, s[28:31], 0 offset:56 ; 4-byte Folded Spill
	buffer_store_dword v154, off, s[28:31], 0 offset:60 ; 4-byte Folded Spill
	;; [unrolled: 1-line block ×4, first 2 shown]
	v_fma_f64 v[30:31], v[30:31], v[189:190], -v[128:129]
	v_mul_f64 v[128:129], v[4:5], v[167:168]
	v_fma_f64 v[4:5], v[4:5], v[165:166], v[126:127]
	buffer_store_dword v165, off, s[28:31], 0 offset:104 ; 4-byte Folded Spill
	buffer_store_dword v166, off, s[28:31], 0 offset:108 ; 4-byte Folded Spill
	buffer_store_dword v167, off, s[28:31], 0 offset:112 ; 4-byte Folded Spill
	buffer_store_dword v168, off, s[28:31], 0 offset:116 ; 4-byte Folded Spill
	buffer_store_dword v169, off, s[28:31], 0 offset:120 ; 4-byte Folded Spill
	buffer_store_dword v170, off, s[28:31], 0 offset:124 ; 4-byte Folded Spill
	buffer_store_dword v171, off, s[28:31], 0 offset:128 ; 4-byte Folded Spill
	buffer_store_dword v172, off, s[28:31], 0 offset:132 ; 4-byte Folded Spill
	buffer_store_dword v161, off, s[28:31], 0 offset:88 ; 4-byte Folded Spill
	buffer_store_dword v162, off, s[28:31], 0 offset:92 ; 4-byte Folded Spill
	buffer_store_dword v163, off, s[28:31], 0 offset:96 ; 4-byte Folded Spill
	buffer_store_dword v164, off, s[28:31], 0 offset:100 ; 4-byte Folded Spill
	v_fma_f64 v[26:27], v[26:27], v[181:182], -v[132:133]
	v_lshlrev_b32_e32 v145, 5, v105
	v_lshlrev_b32_e32 v144, 4, v106
	v_and_b32_e32 v189, 3, v97
	v_fma_f64 v[22:23], v[22:23], v[173:174], -v[110:111]
	v_fma_f64 v[14:15], v[14:15], v[157:158], -v[134:135]
	;; [unrolled: 1-line block ×6, first 2 shown]
	ds_write_b128 v112, v[76:79] offset:1008
	ds_write_b128 v112, v[64:67] offset:13104
	;; [unrolled: 1-line block ×22, first 2 shown]
	s_waitcnt lgkmcnt(0)
	s_waitcnt_vscnt null, 0x0
	s_barrier
	buffer_gl0_inv
	ds_read_b128 v[0:3], v112
	ds_read_b128 v[4:7], v112 offset:1008
	ds_read_b128 v[8:11], v112 offset:12096
	;; [unrolled: 1-line block ×23, first 2 shown]
	s_waitcnt lgkmcnt(21)
	v_add_f64 v[8:9], v[0:1], -v[8:9]
	v_add_f64 v[10:11], v[2:3], -v[10:11]
	s_waitcnt lgkmcnt(17)
	v_add_f64 v[24:25], v[16:17], -v[24:25]
	v_add_f64 v[26:27], v[18:19], -v[26:27]
	;; [unrolled: 3-line block ×11, first 2 shown]
	v_add_f64 v[12:13], v[4:5], -v[12:13]
	v_add_f64 v[14:15], v[6:7], -v[14:15]
	v_fma_f64 v[0:1], v[0:1], 2.0, -v[8:9]
	v_fma_f64 v[2:3], v[2:3], 2.0, -v[10:11]
	;; [unrolled: 1-line block ×24, first 2 shown]
	s_barrier
	buffer_gl0_inv
	ds_write_b128 v115, v[8:11] offset:16
	ds_write_b128 v115, v[0:3]
	ds_write_b128 v151, v[4:7]
	buffer_store_dword v151, off, s[28:31], 0 offset:996 ; 4-byte Folded Spill
	ds_write_b128 v151, v[12:15] offset:16
	ds_write_b128 v244, v[16:19]
	buffer_store_dword v244, off, s[28:31], 0 offset:1524 ; 4-byte Folded Spill
	ds_write_b128 v244, v[24:27] offset:16
	;; [unrolled: 3-line block ×7, first 2 shown]
	ds_write_b128 v146, v[64:67] offset:16128
	buffer_store_dword v147, off, s[28:31], 0 offset:1528 ; 4-byte Folded Spill
	ds_write_b128 v147, v[72:75] offset:16
	ds_write_b128 v115, v[68:71] offset:18144
	buffer_store_dword v238, off, s[28:31], 0 offset:1468 ; 4-byte Folded Spill
	ds_write_b128 v238, v[76:79] offset:16
	ds_write_b128 v115, v[82:85] offset:20160
	buffer_store_dword v237, off, s[28:31], 0 offset:1448 ; 4-byte Folded Spill
	ds_write_b128 v237, v[90:93] offset:16
	ds_write_b128 v115, v[86:89] offset:22176
	buffer_store_dword v145, off, s[28:31], 0 offset:1520 ; 4-byte Folded Spill
	ds_write_b128 v145, v[116:119] offset:16
	s_waitcnt lgkmcnt(0)
	s_waitcnt_vscnt null, 0x0
	s_barrier
	buffer_gl0_inv
	s_clause 0x1
	global_load_dwordx4 v[148:151], v144, s[14:15]
	global_load_dwordx4 v[144:147], v152, s[14:15]
	v_and_b32_e32 v87, 1, v97
	v_lshlrev_b32_e32 v0, 4, v81
	v_and_b32_e32 v89, 1, v99
	v_and_b32_e32 v88, 1, v107
	v_and_or_b32 v86, 0x7c, v104, v106
	v_lshlrev_b32_e32 v1, 4, v87
	global_load_dwordx4 v[172:175], v0, s[14:15]
	v_lshlrev_b32_e32 v86, 4, v86
	global_load_dwordx4 v[164:167], v1, s[14:15]
	v_lshlrev_b32_e32 v0, 4, v89
	v_lshlrev_b32_e32 v1, 4, v136
	global_load_dwordx4 v[168:171], v0, s[14:15]
	v_lshlrev_b32_e32 v0, 4, v88
	s_clause 0x2
	global_load_dwordx4 v[160:163], v0, s[14:15]
	global_load_dwordx2 v[118:119], v1, s[14:15]
	global_load_dwordx2 v[134:135], v152, s[14:15] offset:8
	ds_read_b128 v[0:3], v112 offset:12096
	ds_read_b128 v[4:7], v112 offset:13104
	;; [unrolled: 1-line block ×10, first 2 shown]
	ds_read_b128 v[40:43], v112
	ds_read_b128 v[44:47], v112 offset:1008
	ds_read_b128 v[48:51], v112 offset:22176
	;; [unrolled: 1-line block ×3, first 2 shown]
	s_waitcnt vmcnt(7) lgkmcnt(13)
	v_mul_f64 v[56:57], v[2:3], v[150:151]
	s_waitcnt vmcnt(6) lgkmcnt(12)
	v_mul_f64 v[60:61], v[6:7], v[146:147]
	v_mul_f64 v[62:63], v[4:5], v[146:147]
	;; [unrolled: 1-line block ×3, first 2 shown]
	s_waitcnt lgkmcnt(11)
	v_mul_f64 v[64:65], v[10:11], v[150:151]
	v_mul_f64 v[66:67], v[8:9], v[150:151]
	s_waitcnt lgkmcnt(9)
	v_mul_f64 v[72:73], v[18:19], v[150:151]
	v_mul_f64 v[74:75], v[16:17], v[150:151]
	s_waitcnt vmcnt(5)
	v_mul_f64 v[68:69], v[14:15], v[174:175]
	v_mul_f64 v[70:71], v[12:13], v[174:175]
	s_waitcnt lgkmcnt(5)
	v_mul_f64 v[110:111], v[32:33], v[150:151]
	v_mul_f64 v[94:95], v[34:35], v[150:151]
	s_waitcnt vmcnt(4)
	v_mul_f64 v[90:91], v[30:31], v[166:167]
	v_mul_f64 v[92:93], v[28:29], v[166:167]
	;; [unrolled: 1-line block ×4, first 2 shown]
	s_waitcnt lgkmcnt(1)
	v_mul_f64 v[128:129], v[50:51], v[150:151]
	s_waitcnt vmcnt(3)
	v_mul_f64 v[76:77], v[22:23], v[170:171]
	v_mul_f64 v[78:79], v[20:21], v[170:171]
	v_fma_f64 v[0:1], v[0:1], v[148:149], -v[56:57]
	s_waitcnt vmcnt(1)
	v_fma_f64 v[4:5], v[4:5], v[118:119], -v[60:61]
	buffer_store_dword v118, off, s[28:31], 0 offset:1572 ; 4-byte Folded Spill
	buffer_store_dword v119, off, s[28:31], 0 offset:1576 ; 4-byte Folded Spill
	v_fma_f64 v[2:3], v[2:3], v[148:149], v[58:59]
	v_fma_f64 v[8:9], v[8:9], v[148:149], -v[64:65]
	v_fma_f64 v[10:11], v[10:11], v[148:149], v[66:67]
	v_fma_f64 v[120:121], v[16:17], v[148:149], -v[72:73]
	;; [unrolled: 2-line block ×3, first 2 shown]
	v_fma_f64 v[14:15], v[14:15], v[172:173], v[70:71]
	v_fma_f64 v[110:111], v[34:35], v[148:149], v[110:111]
	s_waitcnt vmcnt(0) lgkmcnt(0)
	v_mul_f64 v[34:35], v[54:55], v[134:135]
	v_fma_f64 v[90:91], v[28:29], v[164:165], -v[90:91]
	v_fma_f64 v[92:93], v[30:31], v[164:165], v[92:93]
	v_mul_f64 v[116:117], v[38:39], v[162:163]
	v_fma_f64 v[124:125], v[24:25], v[148:149], -v[82:83]
	v_fma_f64 v[126:127], v[26:27], v[148:149], v[84:85]
	v_fma_f64 v[94:95], v[32:33], v[148:149], -v[94:95]
	v_fma_f64 v[76:77], v[20:21], v[168:169], -v[76:77]
	v_fma_f64 v[78:79], v[22:23], v[168:169], v[78:79]
	v_mul_f64 v[32:33], v[48:49], v[150:151]
	v_add_f64 v[82:83], v[40:41], -v[0:1]
	v_add_f64 v[24:25], v[44:45], -v[4:5]
	;; [unrolled: 1-line block ×3, first 2 shown]
	v_fma_f64 v[130:131], v[36:37], v[160:161], -v[116:117]
	v_fma_f64 v[116:117], v[44:45], 2.0, -v[24:25]
	v_fma_f64 v[6:7], v[6:7], v[118:119], v[62:63]
	ds_read_b128 v[56:59], v112 offset:2016
	ds_read_b128 v[60:63], v112 offset:3024
	;; [unrolled: 1-line block ×6, first 2 shown]
	buffer_store_dword v134, off, s[28:31], 0 offset:1460 ; 4-byte Folded Spill
	buffer_store_dword v135, off, s[28:31], 0 offset:1464 ; 4-byte Folded Spill
	v_mul_f64 v[118:119], v[36:37], v[162:163]
	s_waitcnt lgkmcnt(5)
	v_add_f64 v[20:21], v[56:57], -v[8:9]
	s_waitcnt lgkmcnt(4)
	v_add_f64 v[16:17], v[60:61], -v[12:13]
	v_add_f64 v[18:19], v[62:63], -v[14:15]
	;; [unrolled: 1-line block ×3, first 2 shown]
	s_waitcnt lgkmcnt(2)
	v_add_f64 v[8:9], v[68:69], -v[76:77]
	v_add_f64 v[10:11], v[70:71], -v[78:79]
	ds_read_b128 v[76:79], v112 offset:8064
	v_add_f64 v[26:27], v[46:47], -v[6:7]
	s_waitcnt lgkmcnt(2)
	v_add_f64 v[4:5], v[28:29], -v[124:125]
	v_add_f64 v[6:7], v[30:31], -v[126:127]
	s_waitcnt lgkmcnt(1)
	v_add_f64 v[0:1], v[72:73], -v[90:91]
	v_add_f64 v[2:3], v[74:75], -v[92:93]
	v_fma_f64 v[124:125], v[48:49], v[148:149], -v[128:129]
	v_fma_f64 v[126:127], v[50:51], v[148:149], v[32:33]
	v_fma_f64 v[90:91], v[40:41], 2.0, -v[82:83]
	v_fma_f64 v[92:93], v[42:43], 2.0, -v[84:85]
	v_fma_f64 v[132:133], v[38:39], v[160:161], v[118:119]
	v_add_f64 v[12:13], v[64:65], -v[120:121]
	v_add_f64 v[14:15], v[66:67], -v[122:123]
	v_fma_f64 v[128:129], v[52:53], v[144:145], -v[34:35]
	v_fma_f64 v[120:121], v[56:57], 2.0, -v[20:21]
	v_fma_f64 v[40:41], v[60:61], 2.0, -v[16:17]
	;; [unrolled: 1-line block ×3, first 2 shown]
	ds_read_b128 v[60:63], v112 offset:9072
	s_waitcnt lgkmcnt(1)
	v_add_f64 v[48:49], v[76:77], -v[94:95]
	v_add_f64 v[50:51], v[78:79], -v[110:111]
	v_fma_f64 v[32:33], v[68:69], 2.0, -v[8:9]
	v_fma_f64 v[34:35], v[70:71], 2.0, -v[10:11]
	;; [unrolled: 1-line block ×9, first 2 shown]
	s_waitcnt lgkmcnt(0)
	v_add_f64 v[56:57], v[60:61], -v[130:131]
	v_add_f64 v[58:59], v[62:63], -v[132:133]
	v_fma_f64 v[60:61], v[60:61], 2.0, -v[56:57]
	v_fma_f64 v[62:63], v[62:63], 2.0, -v[58:59]
	v_mul_f64 v[36:37], v[52:53], v[134:135]
	v_fma_f64 v[52:53], v[76:77], 2.0, -v[48:49]
	v_fma_f64 v[134:135], v[54:55], v[144:145], v[36:37]
	v_fma_f64 v[54:55], v[78:79], 2.0, -v[50:51]
	ds_read_b128 v[68:71], v112 offset:10080
	ds_read_b128 v[76:79], v112 offset:11088
	v_fma_f64 v[36:37], v[64:65], 2.0, -v[12:13]
	s_waitcnt lgkmcnt(0)
	s_waitcnt_vscnt null, 0x0
	s_barrier
	buffer_gl0_inv
	ds_write_b128 v86, v[82:85] offset:32
	buffer_store_dword v86, off, s[28:31], 0 offset:1508 ; 4-byte Folded Spill
	ds_write_b128 v86, v[90:93]
	v_lshlrev_b32_e32 v86, 1, v102
	v_lshlrev_b32_e32 v85, 1, v101
	;; [unrolled: 1-line block ×5, first 2 shown]
	v_and_or_b32 v82, 0xfc, v86, v136
	v_and_or_b32 v90, 0x1fc, v85, v106
	v_lshlrev_b32_e32 v92, 1, v98
	v_and_or_b32 v81, 0x1fc, v84, v81
	v_and_or_b32 v95, 0x3fc, v83, v106
	v_lshlrev_b32_e32 v91, 4, v82
	v_add_f64 v[64:65], v[68:69], -v[124:125]
	v_add_f64 v[66:67], v[70:71], -v[126:127]
	;; [unrolled: 1-line block ×4, first 2 shown]
	v_lshlrev_b32_e32 v110, 4, v90
	ds_write_b128 v91, v[24:27] offset:32
	v_lshlrev_b32_e32 v25, 1, v97
	v_lshlrev_b32_e32 v24, 1, v107
	;; [unrolled: 1-line block ×4, first 2 shown]
	ds_write_b128 v91, v[116:119]
	v_and_b32_e32 v82, 3, v113
	v_and_or_b32 v89, 0x2fc, v93, v89
	ds_write_b128 v110, v[20:23] offset:32
	v_and_or_b32 v20, 0x3fc, v92, v106
	v_and_or_b32 v21, 0x3fc, v25, v87
	;; [unrolled: 1-line block ×6, first 2 shown]
	buffer_store_dword v91, off, s[28:31], 0 offset:1500 ; 4-byte Folded Spill
	v_lshlrev_b32_e32 v94, 4, v82
	v_fma_f64 v[68:69], v[68:69], 2.0, -v[64:65]
	v_fma_f64 v[70:71], v[70:71], 2.0, -v[66:67]
	;; [unrolled: 1-line block ×4, first 2 shown]
	v_and_b32_e32 v91, 3, v107
	v_and_b32_e32 v90, 3, v108
	v_lshlrev_b32_e32 v108, 4, v81
	v_lshlrev_b32_e32 v107, 4, v95
	;; [unrolled: 1-line block ×9, first 2 shown]
	ds_write_b128 v110, v[120:123]
	buffer_store_dword v110, off, s[28:31], 0 offset:1496 ; 4-byte Folded Spill
	ds_write_b128 v108, v[40:43]
	buffer_store_dword v108, off, s[28:31], 0 offset:1596 ; 4-byte Folded Spill
	ds_write_b128 v108, v[16:19] offset:32
	ds_write_b128 v107, v[36:39]
	buffer_store_dword v107, off, s[28:31], 0 offset:1592 ; 4-byte Folded Spill
	ds_write_b128 v107, v[12:15] offset:32
	;; [unrolled: 3-line block ×9, first 2 shown]
	s_waitcnt lgkmcnt(0)
	s_waitcnt_vscnt null, 0x0
	s_barrier
	buffer_gl0_inv
	global_load_dwordx4 v[140:143], v94, s[14:15] offset:32
	v_and_b32_e32 v89, 3, v105
	v_lshlrev_b32_e32 v88, 4, v91
	v_lshlrev_b32_e32 v40, 4, v90
	;; [unrolled: 1-line block ×3, first 2 shown]
	s_clause 0x1
	global_load_dwordx4 v[136:139], v88, s[14:15] offset:32
	global_load_dwordx4 v[132:135], v40, s[14:15] offset:32
	v_lshlrev_b32_e32 v41, 4, v89
	v_lshlrev_b32_e32 v1, 4, v185
	s_clause 0x2
	global_load_dwordx4 v[128:131], v41, s[14:15] offset:32
	global_load_dwordx2 v[46:47], v0, s[14:15] offset:32
	global_load_dwordx2 v[42:43], v1, s[14:15] offset:32
	v_lshlrev_b32_e32 v0, 4, v186
	v_lshlrev_b32_e32 v1, 4, v187
	s_clause 0x1
	global_load_dwordx4 v[156:159], v0, s[14:15] offset:32
	global_load_dwordx2 v[44:45], v1, s[14:15] offset:32
	v_lshlrev_b32_e32 v0, 4, v188
	global_load_dwordx4 v[152:155], v0, s[14:15] offset:32
	ds_read_b128 v[0:3], v112 offset:12096
	ds_read_b128 v[4:7], v112 offset:13104
	;; [unrolled: 1-line block ×4, first 2 shown]
	global_load_dwordx2 v[54:55], v88, s[14:15] offset:40
	ds_read_b128 v[16:19], v112 offset:16128
	ds_read_b128 v[20:23], v112 offset:17136
	global_load_dwordx2 v[52:53], v41, s[14:15] offset:40
	s_waitcnt vmcnt(10) lgkmcnt(5)
	v_mul_f64 v[28:29], v[2:3], v[142:143]
	v_mul_f64 v[30:31], v[0:1], v[142:143]
	s_waitcnt vmcnt(9) lgkmcnt(4)
	v_mul_f64 v[32:33], v[6:7], v[138:139]
	s_waitcnt vmcnt(8) lgkmcnt(3)
	v_mul_f64 v[36:37], v[10:11], v[134:135]
	v_mul_f64 v[34:35], v[4:5], v[138:139]
	;; [unrolled: 1-line block ×3, first 2 shown]
	v_fma_f64 v[28:29], v[0:1], v[140:141], -v[28:29]
	s_waitcnt vmcnt(7) lgkmcnt(2)
	v_mul_f64 v[0:1], v[14:15], v[130:131]
	v_fma_f64 v[30:31], v[2:3], v[140:141], v[30:31]
	v_mul_f64 v[2:3], v[12:13], v[130:131]
	s_waitcnt vmcnt(6)
	v_fma_f64 v[32:33], v[4:5], v[46:47], -v[32:33]
	buffer_store_dword v46, off, s[28:31], 0 offset:1548 ; 4-byte Folded Spill
	buffer_store_dword v47, off, s[28:31], 0 offset:1552 ; 4-byte Folded Spill
	s_waitcnt vmcnt(5)
	v_fma_f64 v[36:37], v[8:9], v[42:43], -v[36:37]
	buffer_store_dword v42, off, s[28:31], 0 offset:1532 ; 4-byte Folded Spill
	buffer_store_dword v43, off, s[28:31], 0 offset:1536 ; 4-byte Folded Spill
	global_load_dwordx2 v[56:57], v40, s[14:15] offset:40
	s_waitcnt lgkmcnt(1)
	v_mul_f64 v[4:5], v[18:19], v[142:143]
	s_waitcnt vmcnt(5) lgkmcnt(0)
	v_mul_f64 v[8:9], v[22:23], v[158:159]
	s_waitcnt vmcnt(4)
	v_fma_f64 v[40:41], v[12:13], v[44:45], -v[0:1]
	buffer_store_dword v44, off, s[28:31], 0 offset:1540 ; 4-byte Folded Spill
	buffer_store_dword v45, off, s[28:31], 0 offset:1544 ; 4-byte Folded Spill
	v_fma_f64 v[48:49], v[20:21], v[156:157], -v[8:9]
	v_fma_f64 v[34:35], v[6:7], v[46:47], v[34:35]
	v_mul_f64 v[6:7], v[16:17], v[142:143]
	v_fma_f64 v[38:39], v[10:11], v[42:43], v[38:39]
	v_mul_f64 v[10:11], v[20:21], v[158:159]
	v_fma_f64 v[42:43], v[14:15], v[44:45], v[2:3]
	ds_read_b128 v[0:3], v112 offset:18144
	v_fma_f64 v[44:45], v[16:17], v[140:141], -v[4:5]
	v_fma_f64 v[46:47], v[18:19], v[140:141], v[6:7]
	ds_read_b128 v[4:7], v112 offset:19152
	v_fma_f64 v[50:51], v[22:23], v[156:157], v[10:11]
	s_waitcnt vmcnt(3) lgkmcnt(1)
	v_mul_f64 v[8:9], v[2:3], v[154:155]
	v_fma_f64 v[60:61], v[0:1], v[152:153], -v[8:9]
	v_mul_f64 v[0:1], v[0:1], v[154:155]
	v_fma_f64 v[62:63], v[2:3], v[152:153], v[0:1]
	v_lshlrev_b32_e32 v0, 4, v189
	global_load_dwordx4 v[176:179], v0, s[14:15] offset:32
	s_waitcnt vmcnt(0) lgkmcnt(0)
	v_mul_f64 v[0:1], v[6:7], v[178:179]
	v_fma_f64 v[64:65], v[4:5], v[176:177], -v[0:1]
	v_mul_f64 v[0:1], v[4:5], v[178:179]
	v_fma_f64 v[66:67], v[6:7], v[176:177], v[0:1]
	ds_read_b128 v[0:3], v112 offset:20160
	ds_read_b128 v[4:7], v112 offset:21168
	s_waitcnt lgkmcnt(1)
	v_mul_f64 v[8:9], v[2:3], v[142:143]
	v_fma_f64 v[76:77], v[0:1], v[140:141], -v[8:9]
	v_mul_f64 v[0:1], v[0:1], v[142:143]
	v_fma_f64 v[78:79], v[2:3], v[140:141], v[0:1]
	s_waitcnt lgkmcnt(0)
	v_mul_f64 v[0:1], v[6:7], v[54:55]
	buffer_store_dword v54, off, s[28:31], 0 offset:1472 ; 4-byte Folded Spill
	buffer_store_dword v55, off, s[28:31], 0 offset:1476 ; 4-byte Folded Spill
	v_fma_f64 v[80:81], v[4:5], v[136:137], -v[0:1]
	v_mul_f64 v[0:1], v[4:5], v[54:55]
	v_fma_f64 v[87:88], v[6:7], v[136:137], v[0:1]
	ds_read_b128 v[0:3], v112 offset:22176
	ds_read_b128 v[4:7], v112 offset:23184
	s_waitcnt lgkmcnt(1)
	v_mul_f64 v[8:9], v[2:3], v[56:57]
	buffer_store_dword v56, off, s[28:31], 0 offset:1484 ; 4-byte Folded Spill
	buffer_store_dword v57, off, s[28:31], 0 offset:1488 ; 4-byte Folded Spill
	v_fma_f64 v[94:95], v[0:1], v[132:133], -v[8:9]
	v_mul_f64 v[0:1], v[0:1], v[56:57]
	v_fma_f64 v[110:111], v[2:3], v[132:133], v[0:1]
	s_waitcnt lgkmcnt(0)
	v_mul_f64 v[0:1], v[6:7], v[52:53]
	buffer_store_dword v52, off, s[28:31], 0 offset:1452 ; 4-byte Folded Spill
	buffer_store_dword v53, off, s[28:31], 0 offset:1456 ; 4-byte Folded Spill
	v_fma_f64 v[180:181], v[4:5], v[128:129], -v[0:1]
	v_mul_f64 v[0:1], v[4:5], v[52:53]
	v_fma_f64 v[182:183], v[6:7], v[128:129], v[0:1]
	ds_read_b128 v[0:3], v112
	ds_read_b128 v[4:7], v112 offset:1008
	ds_read_b128 v[16:19], v112 offset:2016
	;; [unrolled: 1-line block ×3, first 2 shown]
	s_waitcnt lgkmcnt(3)
	v_add_f64 v[8:9], v[0:1], -v[28:29]
	v_add_f64 v[10:11], v[2:3], -v[30:31]
	s_waitcnt lgkmcnt(2)
	v_add_f64 v[12:13], v[4:5], -v[32:33]
	v_add_f64 v[14:15], v[6:7], -v[34:35]
	;; [unrolled: 3-line block ×4, first 2 shown]
	ds_read_b128 v[36:39], v112 offset:4032
	ds_read_b128 v[40:43], v112 offset:5040
	;; [unrolled: 1-line block ×8, first 2 shown]
	s_waitcnt lgkmcnt(0)
	s_waitcnt_vscnt null, 0x0
	s_barrier
	buffer_gl0_inv
	v_fma_f64 v[0:1], v[0:1], 2.0, -v[8:9]
	v_fma_f64 v[2:3], v[2:3], 2.0, -v[10:11]
	;; [unrolled: 1-line block ×5, first 2 shown]
	v_add_f64 v[44:45], v[36:37], -v[44:45]
	v_add_f64 v[46:47], v[38:39], -v[46:47]
	v_fma_f64 v[18:19], v[18:19], 2.0, -v[30:31]
	v_add_f64 v[105:106], v[72:73], -v[80:81]
	v_and_or_b32 v80, 0x78, v104, v82
	v_add_f64 v[48:49], v[40:41], -v[48:49]
	v_add_f64 v[50:51], v[42:43], -v[50:51]
	v_fma_f64 v[20:21], v[20:21], 2.0, -v[32:33]
	v_fma_f64 v[22:23], v[22:23], 2.0, -v[34:35]
	v_lshlrev_b32_e32 v80, 4, v80
	v_add_f64 v[60:61], v[52:53], -v[60:61]
	v_add_f64 v[62:63], v[54:55], -v[62:63]
	v_add_f64 v[64:65], v[56:57], -v[64:65]
	v_add_f64 v[66:67], v[58:59], -v[66:67]
	ds_write_b128 v80, v[8:11] offset:64
	v_add_f64 v[76:77], v[68:69], -v[76:77]
	v_add_f64 v[78:79], v[70:71], -v[78:79]
	;; [unrolled: 1-line block ×3, first 2 shown]
	ds_write_b128 v80, v[0:3]
	v_and_or_b32 v0, 0xf8, v86, v184
	v_add_f64 v[124:125], v[116:117], -v[94:95]
	v_add_f64 v[126:127], v[118:119], -v[110:111]
	v_fma_f64 v[36:37], v[36:37], 2.0, -v[44:45]
	v_fma_f64 v[38:39], v[38:39], 2.0, -v[46:47]
	v_lshlrev_b32_e32 v0, 4, v0
	v_add_f64 v[180:181], v[120:121], -v[180:181]
	v_add_f64 v[182:183], v[122:123], -v[182:183]
	v_fma_f64 v[40:41], v[40:41], 2.0, -v[48:49]
	v_fma_f64 v[42:43], v[42:43], 2.0, -v[50:51]
	ds_write_b128 v0, v[4:7]
	buffer_store_dword v0, off, s[28:31], 0 offset:1440 ; 4-byte Folded Spill
	ds_write_b128 v0, v[12:15] offset:64
	v_and_or_b32 v0, 0x1f8, v85, v185
	v_fma_f64 v[52:53], v[52:53], 2.0, -v[60:61]
	v_fma_f64 v[54:55], v[54:55], 2.0, -v[62:63]
	;; [unrolled: 1-line block ×4, first 2 shown]
	v_lshlrev_b32_e32 v0, 4, v0
	v_fma_f64 v[68:69], v[68:69], 2.0, -v[76:77]
	v_fma_f64 v[70:71], v[70:71], 2.0, -v[78:79]
	;; [unrolled: 1-line block ×4, first 2 shown]
	ds_write_b128 v0, v[16:19]
	buffer_store_dword v0, off, s[28:31], 0 offset:1436 ; 4-byte Folded Spill
	ds_write_b128 v0, v[28:31] offset:64
	v_and_or_b32 v0, 0x1f8, v84, v187
	v_fma_f64 v[116:117], v[116:117], 2.0, -v[124:125]
	v_fma_f64 v[118:119], v[118:119], 2.0, -v[126:127]
	;; [unrolled: 1-line block ×4, first 2 shown]
	v_lshlrev_b32_e32 v0, 4, v0
	v_and_or_b32 v1, 0x7f8, v109, v82
	v_and_or_b32 v2, 0x4f8, v24, v91
	v_and_or_b32 v3, 0x5f8, v26, v90
	v_and_or_b32 v4, 0x5f8, v27, v89
	ds_write_b128 v0, v[20:23]
	buffer_store_dword v0, off, s[28:31], 0 offset:1432 ; 4-byte Folded Spill
	ds_write_b128 v0, v[32:35] offset:64
	v_and_or_b32 v0, 0x3f8, v83, v82
	v_lshlrev_b32_e32 v7, 4, v1
	v_lshlrev_b32_e32 v6, 4, v2
	v_lshlrev_b32_e32 v2, 4, v3
	v_lshlrev_b32_e32 v1, 4, v4
	v_lshlrev_b32_e32 v0, 4, v0
	buffer_store_dword v80, off, s[28:31], 0 offset:1444 ; 4-byte Folded Spill
	ds_write_b128 v0, v[36:39]
	buffer_store_dword v0, off, s[28:31], 0 offset:1428 ; 4-byte Folded Spill
	ds_write_b128 v0, v[44:47] offset:64
	v_and_or_b32 v0, 0x2f8, v93, v186
	v_lshlrev_b32_e32 v0, 4, v0
	ds_write_b128 v0, v[40:43]
	buffer_store_dword v0, off, s[28:31], 0 offset:1424 ; 4-byte Folded Spill
	ds_write_b128 v0, v[48:51] offset:64
	v_and_or_b32 v0, 0x3f8, v92, v188
	v_lshlrev_b32_e32 v0, 4, v0
	ds_write_b128 v0, v[52:55]
	buffer_store_dword v0, off, s[28:31], 0 offset:1420 ; 4-byte Folded Spill
	ds_write_b128 v0, v[60:63] offset:64
	v_and_or_b32 v0, 0x3f8, v25, v189
	v_and_b32_e32 v63, 7, v99
	v_lshlrev_b32_e32 v8, 4, v0
	v_and_b32_e32 v0, 7, v113
	ds_write_b128 v8, v[56:59]
	v_lshlrev_b32_e32 v5, 5, v0
	buffer_store_dword v8, off, s[28:31], 0 offset:1416 ; 4-byte Folded Spill
	ds_write_b128 v8, v[64:67] offset:64
	ds_write_b128 v7, v[68:71]
	buffer_store_dword v7, off, s[28:31], 0 offset:1364 ; 4-byte Folded Spill
	ds_write_b128 v7, v[76:79] offset:64
	ds_write_b128 v6, v[72:75]
	;; [unrolled: 3-line block ×4, first 2 shown]
	buffer_store_dword v1, off, s[28:31], 0 offset:1320 ; 4-byte Folded Spill
	ds_write_b128 v1, v[180:183] offset:64
	s_waitcnt lgkmcnt(0)
	s_waitcnt_vscnt null, 0x0
	s_barrier
	buffer_gl0_inv
	s_clause 0x1
	global_load_dwordx4 v[36:39], v5, s[14:15] offset:96
	global_load_dwordx4 v[24:27], v5, s[14:15] offset:112
	v_and_b32_e32 v1, 7, v102
	v_lshlrev_b32_e32 v2, 5, v1
	s_clause 0x1
	global_load_dwordx4 v[28:31], v2, s[14:15] offset:96
	global_load_dwordx4 v[32:35], v2, s[14:15] offset:112
	ds_read_b128 v[2:5], v112 offset:8064
	ds_read_b128 v[6:9], v112 offset:9072
	;; [unrolled: 1-line block ×4, first 2 shown]
	s_waitcnt vmcnt(3) lgkmcnt(3)
	v_mul_f64 v[18:19], v[4:5], v[38:39]
	v_mul_f64 v[20:21], v[2:3], v[38:39]
	v_fma_f64 v[18:19], v[2:3], v[36:37], -v[18:19]
	buffer_store_dword v36, off, s[28:31], 0 offset:1348 ; 4-byte Folded Spill
	buffer_store_dword v37, off, s[28:31], 0 offset:1352 ; 4-byte Folded Spill
	;; [unrolled: 1-line block ×4, first 2 shown]
	s_waitcnt vmcnt(2) lgkmcnt(1)
	v_mul_f64 v[2:3], v[12:13], v[26:27]
	v_fma_f64 v[22:23], v[10:11], v[24:25], -v[2:3]
	s_waitcnt vmcnt(1)
	v_mul_f64 v[2:3], v[8:9], v[30:31]
	v_fma_f64 v[20:21], v[4:5], v[36:37], v[20:21]
	v_mul_f64 v[4:5], v[10:11], v[26:27]
	buffer_store_dword v24, off, s[28:31], 0 offset:1324 ; 4-byte Folded Spill
	buffer_store_dword v25, off, s[28:31], 0 offset:1328 ; 4-byte Folded Spill
	;; [unrolled: 1-line block ×4, first 2 shown]
	v_fma_f64 v[26:27], v[6:7], v[28:29], -v[2:3]
	v_and_b32_e32 v2, 7, v101
	v_fma_f64 v[24:25], v[12:13], v[24:25], v[4:5]
	v_mul_f64 v[4:5], v[6:7], v[30:31]
	buffer_store_dword v28, off, s[28:31], 0 offset:1304 ; 4-byte Folded Spill
	buffer_store_dword v29, off, s[28:31], 0 offset:1308 ; 4-byte Folded Spill
	;; [unrolled: 1-line block ×4, first 2 shown]
	v_fma_f64 v[28:29], v[8:9], v[28:29], v[4:5]
	s_waitcnt vmcnt(0) lgkmcnt(0)
	v_mul_f64 v[3:4], v[16:17], v[34:35]
	v_mul_f64 v[5:6], v[14:15], v[34:35]
	v_fma_f64 v[30:31], v[14:15], v[32:33], -v[3:4]
	buffer_store_dword v32, off, s[28:31], 0 offset:1288 ; 4-byte Folded Spill
	buffer_store_dword v33, off, s[28:31], 0 offset:1292 ; 4-byte Folded Spill
	buffer_store_dword v34, off, s[28:31], 0 offset:1296 ; 4-byte Folded Spill
	buffer_store_dword v35, off, s[28:31], 0 offset:1300 ; 4-byte Folded Spill
	v_lshlrev_b32_e32 v3, 5, v2
	v_fma_f64 v[32:33], v[16:17], v[32:33], v[5:6]
	s_clause 0x1
	global_load_dwordx4 v[13:16], v3, s[14:15] offset:96
	global_load_dwordx4 v[68:71], v3, s[14:15] offset:112
	ds_read_b128 v[3:6], v112 offset:10080
	ds_read_b128 v[7:10], v112 offset:11088
	s_waitcnt vmcnt(1) lgkmcnt(1)
	v_mul_f64 v[11:12], v[5:6], v[15:16]
	v_fma_f64 v[37:38], v[3:4], v[13:14], -v[11:12]
	v_mul_f64 v[3:4], v[3:4], v[15:16]
	buffer_store_dword v13, off, s[28:31], 0 offset:1400 ; 4-byte Folded Spill
	buffer_store_dword v14, off, s[28:31], 0 offset:1404 ; 4-byte Folded Spill
	;; [unrolled: 1-line block ×4, first 2 shown]
	v_fma_f64 v[39:40], v[5:6], v[13:14], v[3:4]
	ds_read_b128 v[3:6], v112 offset:18144
	ds_read_b128 v[11:14], v112 offset:19152
	s_waitcnt vmcnt(0) lgkmcnt(1)
	v_mul_f64 v[15:16], v[5:6], v[70:71]
	v_fma_f64 v[41:42], v[3:4], v[68:69], -v[15:16]
	v_mul_f64 v[3:4], v[3:4], v[70:71]
	v_fma_f64 v[43:44], v[5:6], v[68:69], v[3:4]
	v_and_b32_e32 v3, 7, v114
	v_lshlrev_b32_e32 v4, 5, v3
	s_clause 0x1
	global_load_dwordx4 v[76:79], v4, s[14:15] offset:96
	global_load_dwordx4 v[51:54], v4, s[14:15] offset:112
	s_waitcnt vmcnt(1)
	v_mul_f64 v[4:5], v[9:10], v[78:79]
	v_fma_f64 v[45:46], v[7:8], v[76:77], -v[4:5]
	v_mul_f64 v[4:5], v[7:8], v[78:79]
	v_fma_f64 v[47:48], v[9:10], v[76:77], v[4:5]
	s_waitcnt vmcnt(0) lgkmcnt(0)
	v_mul_f64 v[4:5], v[13:14], v[53:54]
	v_fma_f64 v[49:50], v[11:12], v[51:52], -v[4:5]
	v_mul_f64 v[4:5], v[11:12], v[53:54]
	buffer_store_dword v51, off, s[28:31], 0 offset:1384 ; 4-byte Folded Spill
	buffer_store_dword v52, off, s[28:31], 0 offset:1388 ; 4-byte Folded Spill
	;; [unrolled: 1-line block ×4, first 2 shown]
	v_fma_f64 v[51:52], v[13:14], v[51:52], v[4:5]
	v_and_b32_e32 v4, 7, v100
	v_lshlrev_b32_e32 v5, 5, v4
	s_clause 0x1
	global_load_dwordx4 v[108:111], v5, s[14:15] offset:96
	global_load_dwordx4 v[72:75], v5, s[14:15] offset:112
	ds_read_b128 v[5:8], v112 offset:12096
	ds_read_b128 v[9:12], v112 offset:13104
	s_waitcnt vmcnt(1) lgkmcnt(1)
	v_mul_f64 v[13:14], v[7:8], v[110:111]
	v_fma_f64 v[61:62], v[5:6], v[108:109], -v[13:14]
	v_mul_f64 v[5:6], v[5:6], v[110:111]
	v_fma_f64 v[80:81], v[7:8], v[108:109], v[5:6]
	ds_read_b128 v[5:8], v112 offset:20160
	ds_read_b128 v[13:16], v112 offset:21168
	s_waitcnt vmcnt(0) lgkmcnt(1)
	v_mul_f64 v[34:35], v[7:8], v[74:75]
	v_fma_f64 v[82:83], v[5:6], v[72:73], -v[34:35]
	v_mul_f64 v[5:6], v[5:6], v[74:75]
	v_add_f64 v[86:87], v[61:62], v[82:83]
	v_fma_f64 v[84:85], v[7:8], v[72:73], v[5:6]
	v_lshlrev_b32_e32 v5, 5, v63
	s_clause 0x1
	global_load_dwordx4 v[124:127], v5, s[14:15] offset:96
	global_load_dwordx4 v[116:119], v5, s[14:15] offset:112
	v_add_f64 v[180:181], v[80:81], v[84:85]
	v_add_f64 v[182:183], v[80:81], -v[84:85]
	s_waitcnt vmcnt(1)
	v_mul_f64 v[5:6], v[11:12], v[126:127]
	v_fma_f64 v[88:89], v[9:10], v[124:125], -v[5:6]
	v_mul_f64 v[5:6], v[9:10], v[126:127]
	v_fma_f64 v[90:91], v[11:12], v[124:125], v[5:6]
	s_waitcnt vmcnt(0) lgkmcnt(0)
	v_mul_f64 v[5:6], v[15:16], v[118:119]
	v_fma_f64 v[92:93], v[13:14], v[116:117], -v[5:6]
	v_mul_f64 v[5:6], v[13:14], v[118:119]
	v_fma_f64 v[94:95], v[15:16], v[116:117], v[5:6]
	v_lshlrev_b32_e32 v5, 5, v206
	s_clause 0x1
	global_load_dwordx4 v[53:56], v5, s[14:15] offset:96
	global_load_dwordx4 v[104:107], v5, s[14:15] offset:112
	ds_read_b128 v[5:8], v112 offset:14112
	ds_read_b128 v[9:12], v112 offset:15120
	s_waitcnt vmcnt(1) lgkmcnt(1)
	v_mul_f64 v[13:14], v[7:8], v[55:56]
	v_fma_f64 v[188:189], v[5:6], v[53:54], -v[13:14]
	v_mul_f64 v[5:6], v[5:6], v[55:56]
	buffer_store_dword v53, off, s[28:31], 0 offset:1368 ; 4-byte Folded Spill
	buffer_store_dword v54, off, s[28:31], 0 offset:1372 ; 4-byte Folded Spill
	;; [unrolled: 1-line block ×4, first 2 shown]
	v_add_f64 v[55:56], v[39:40], v[43:44]
	v_fma_f64 v[190:191], v[7:8], v[53:54], v[5:6]
	ds_read_b128 v[5:8], v112 offset:22176
	ds_read_b128 v[13:16], v112 offset:23184
	v_add_f64 v[53:54], v[37:38], v[41:42]
	s_waitcnt vmcnt(0) lgkmcnt(1)
	v_mul_f64 v[34:35], v[7:8], v[106:107]
	v_fma_f64 v[192:193], v[5:6], v[104:105], -v[34:35]
	v_mul_f64 v[5:6], v[5:6], v[106:107]
	v_fma_f64 v[194:195], v[7:8], v[104:105], v[5:6]
	v_lshlrev_b32_e32 v5, 5, v207
	s_clause 0x1
	global_load_dwordx4 v[64:67], v5, s[14:15] offset:96
	global_load_dwordx4 v[120:123], v5, s[14:15] offset:112
	v_add_f64 v[204:205], v[190:191], v[194:195]
	s_waitcnt vmcnt(1)
	v_mul_f64 v[5:6], v[11:12], v[66:67]
	v_fma_f64 v[196:197], v[9:10], v[64:65], -v[5:6]
	v_mul_f64 v[5:6], v[9:10], v[66:67]
	v_fma_f64 v[198:199], v[11:12], v[64:65], v[5:6]
	s_waitcnt vmcnt(0) lgkmcnt(0)
	v_mul_f64 v[5:6], v[15:16], v[122:123]
	v_fma_f64 v[200:201], v[13:14], v[120:121], -v[5:6]
	v_mul_f64 v[5:6], v[13:14], v[122:123]
	v_add_f64 v[13:14], v[18:19], v[22:23]
	v_fma_f64 v[202:203], v[15:16], v[120:121], v[5:6]
	ds_read_b128 v[5:8], v112
	ds_read_b128 v[9:12], v112 offset:1008
	s_waitcnt lgkmcnt(1)
	v_fma_f64 v[15:16], v[13:14], -0.5, v[5:6]
	v_add_f64 v[13:14], v[20:21], v[24:25]
	v_add_f64 v[5:6], v[5:6], v[18:19]
	v_fma_f64 v[34:35], v[13:14], -0.5, v[7:8]
	v_add_f64 v[7:8], v[7:8], v[20:21]
	v_add_f64 v[20:21], v[20:21], -v[24:25]
	v_add_f64 v[5:6], v[5:6], v[22:23]
	v_add_f64 v[22:23], v[18:19], -v[22:23]
	v_add_f64 v[7:8], v[7:8], v[24:25]
	v_fma_f64 v[13:14], v[20:21], s[0:1], v[15:16]
	v_fma_f64 v[17:18], v[20:21], s[2:3], v[15:16]
	;; [unrolled: 1-line block ×4, first 2 shown]
	v_add_f64 v[21:22], v[26:27], v[30:31]
	s_waitcnt lgkmcnt(0)
	v_fma_f64 v[23:24], v[21:22], -0.5, v[9:10]
	v_add_f64 v[21:22], v[28:29], v[32:33]
	v_add_f64 v[9:10], v[9:10], v[26:27]
	v_fma_f64 v[34:35], v[21:22], -0.5, v[11:12]
	v_add_f64 v[11:12], v[11:12], v[28:29]
	v_add_f64 v[28:29], v[28:29], -v[32:33]
	v_add_f64 v[9:10], v[9:10], v[30:31]
	v_add_f64 v[30:31], v[26:27], -v[30:31]
	v_add_f64 v[11:12], v[11:12], v[32:33]
	v_fma_f64 v[21:22], v[28:29], s[0:1], v[23:24]
	v_fma_f64 v[25:26], v[28:29], s[2:3], v[23:24]
	;; [unrolled: 1-line block ×4, first 2 shown]
	ds_read_b128 v[29:32], v112 offset:2016
	ds_read_b128 v[33:36], v112 offset:3024
	s_waitcnt lgkmcnt(1)
	v_fma_f64 v[55:56], v[55:56], -0.5, v[31:32]
	v_add_f64 v[31:32], v[31:32], v[39:40]
	v_fma_f64 v[53:54], v[53:54], -0.5, v[29:30]
	v_add_f64 v[29:30], v[29:30], v[37:38]
	v_add_f64 v[39:40], v[39:40], -v[43:44]
	v_add_f64 v[31:32], v[31:32], v[43:44]
	v_add_f64 v[43:44], v[37:38], -v[41:42]
	v_add_f64 v[29:30], v[29:30], v[41:42]
	v_fma_f64 v[37:38], v[39:40], s[0:1], v[53:54]
	v_fma_f64 v[41:42], v[39:40], s[2:3], v[53:54]
	v_add_f64 v[53:54], v[45:46], v[49:50]
	v_fma_f64 v[39:40], v[43:44], s[2:3], v[55:56]
	v_fma_f64 v[43:44], v[43:44], s[0:1], v[55:56]
	v_add_f64 v[55:56], v[47:48], v[51:52]
	s_waitcnt lgkmcnt(0)
	v_fma_f64 v[53:54], v[53:54], -0.5, v[33:34]
	v_add_f64 v[33:34], v[33:34], v[45:46]
	v_fma_f64 v[55:56], v[55:56], -0.5, v[35:36]
	v_add_f64 v[35:36], v[35:36], v[47:48]
	v_add_f64 v[47:48], v[47:48], -v[51:52]
	v_add_f64 v[33:34], v[33:34], v[49:50]
	v_add_f64 v[35:36], v[35:36], v[51:52]
	v_add_f64 v[51:52], v[45:46], -v[49:50]
	v_fma_f64 v[45:46], v[47:48], s[0:1], v[53:54]
	v_fma_f64 v[49:50], v[47:48], s[2:3], v[53:54]
	;; [unrolled: 1-line block ×4, first 2 shown]
	ds_read_b128 v[53:56], v112 offset:4032
	ds_read_b128 v[57:60], v112 offset:5040
	s_waitcnt lgkmcnt(1)
	v_fma_f64 v[86:87], v[86:87], -0.5, v[53:54]
	v_fma_f64 v[180:181], v[180:181], -0.5, v[55:56]
	v_add_f64 v[55:56], v[55:56], v[80:81]
	v_add_f64 v[53:54], v[53:54], v[61:62]
	v_add_f64 v[61:62], v[61:62], -v[82:83]
	v_fma_f64 v[80:81], v[182:183], s[0:1], v[86:87]
	v_add_f64 v[55:56], v[55:56], v[84:85]
	v_add_f64 v[53:54], v[53:54], v[82:83]
	v_fma_f64 v[84:85], v[182:183], s[2:3], v[86:87]
	v_fma_f64 v[82:83], v[61:62], s[2:3], v[180:181]
	;; [unrolled: 1-line block ×3, first 2 shown]
	v_add_f64 v[180:181], v[90:91], v[94:95]
	v_add_f64 v[61:62], v[88:89], v[92:93]
	s_waitcnt lgkmcnt(0)
	v_fma_f64 v[180:181], v[180:181], -0.5, v[59:60]
	v_add_f64 v[59:60], v[59:60], v[90:91]
	v_fma_f64 v[61:62], v[61:62], -0.5, v[57:58]
	v_add_f64 v[57:58], v[57:58], v[88:89]
	v_add_f64 v[90:91], v[90:91], -v[94:95]
	v_add_f64 v[59:60], v[59:60], v[94:95]
	v_add_f64 v[94:95], v[88:89], -v[92:93]
	v_add_f64 v[57:58], v[57:58], v[92:93]
	v_fma_f64 v[88:89], v[90:91], s[0:1], v[61:62]
	v_fma_f64 v[92:93], v[90:91], s[2:3], v[61:62]
	v_add_f64 v[61:62], v[188:189], v[192:193]
	v_fma_f64 v[90:91], v[94:95], s[2:3], v[180:181]
	v_fma_f64 v[94:95], v[94:95], s[0:1], v[180:181]
	ds_read_b128 v[180:183], v112 offset:6048
	ds_read_b128 v[184:187], v112 offset:7056
	s_waitcnt lgkmcnt(0)
	s_waitcnt_vscnt null, 0x0
	s_barrier
	buffer_gl0_inv
	v_fma_f64 v[204:205], v[204:205], -0.5, v[182:183]
	v_add_f64 v[182:183], v[182:183], v[190:191]
	v_fma_f64 v[61:62], v[61:62], -0.5, v[180:181]
	v_add_f64 v[180:181], v[180:181], v[188:189]
	v_add_f64 v[190:191], v[190:191], -v[194:195]
	v_add_f64 v[182:183], v[182:183], v[194:195]
	v_add_f64 v[194:195], v[188:189], -v[192:193]
	v_add_f64 v[180:181], v[180:181], v[192:193]
	v_fma_f64 v[188:189], v[190:191], s[0:1], v[61:62]
	v_fma_f64 v[192:193], v[190:191], s[2:3], v[61:62]
	v_add_f64 v[61:62], v[196:197], v[200:201]
	v_fma_f64 v[190:191], v[194:195], s[2:3], v[204:205]
	v_fma_f64 v[194:195], v[194:195], s[0:1], v[204:205]
	v_add_f64 v[204:205], v[198:199], v[202:203]
	v_fma_f64 v[61:62], v[61:62], -0.5, v[184:185]
	v_add_f64 v[184:185], v[184:185], v[196:197]
	v_fma_f64 v[204:205], v[204:205], -0.5, v[186:187]
	v_add_f64 v[186:187], v[186:187], v[198:199]
	v_add_f64 v[198:199], v[198:199], -v[202:203]
	v_add_f64 v[184:185], v[184:185], v[200:201]
	v_add_f64 v[186:187], v[186:187], v[202:203]
	v_add_f64 v[202:203], v[196:197], -v[200:201]
	v_fma_f64 v[196:197], v[198:199], s[0:1], v[61:62]
	v_fma_f64 v[200:201], v[198:199], s[2:3], v[61:62]
	v_lshrrev_b32_e32 v61, 3, v113
	v_mul_u32_u24_e32 v61, 24, v61
	v_or_b32_e32 v0, v61, v0
	v_lshlrev_b32_e32 v0, 4, v0
	ds_write_b128 v0, v[5:8]
	ds_write_b128 v0, v[13:16] offset:128
	buffer_store_dword v0, off, s[28:31], 0 offset:1096 ; 4-byte Folded Spill
	ds_write_b128 v0, v[17:20] offset:256
	v_lshrrev_b32_e32 v0, 3, v102
	v_fma_f64 v[198:199], v[202:203], s[2:3], v[204:205]
	v_fma_f64 v[202:203], v[202:203], s[0:1], v[204:205]
	v_mul_u32_u24_e32 v0, 24, v0
	v_or_b32_e32 v0, v0, v1
	v_lshlrev_b32_e32 v0, 4, v0
	ds_write_b128 v0, v[9:12]
	ds_write_b128 v0, v[21:24] offset:128
	buffer_store_dword v0, off, s[28:31], 0 offset:1100 ; 4-byte Folded Spill
	ds_write_b128 v0, v[25:28] offset:256
	v_lshrrev_b32_e32 v0, 3, v101
	v_mul_u32_u24_e32 v0, 24, v0
	v_or_b32_e32 v0, v0, v2
	v_lshlrev_b32_e32 v0, 4, v0
	ds_write_b128 v0, v[29:32]
	ds_write_b128 v0, v[37:40] offset:128
	buffer_store_dword v0, off, s[28:31], 0 offset:1136 ; 4-byte Folded Spill
	ds_write_b128 v0, v[41:44] offset:256
	v_lshrrev_b32_e32 v0, 3, v114
	;; [unrolled: 8-line block ×6, first 2 shown]
	v_mul_u32_u24_e32 v0, 24, v0
	v_or_b32_e32 v0, v0, v207
	v_lshlrev_b32_e32 v0, 4, v0
	ds_write_b128 v0, v[184:187]
	ds_write_b128 v0, v[196:199] offset:128
	buffer_store_dword v0, off, s[28:31], 0 offset:1204 ; 4-byte Folded Spill
	ds_write_b128 v0, v[200:203] offset:256
	v_and_b32_e32 v0, 0xff, v96
	s_waitcnt lgkmcnt(0)
	s_waitcnt_vscnt null, 0x0
	s_barrier
	buffer_gl0_inv
	v_mul_lo_u16 v0, 0xab, v0
	v_lshrrev_b16 v2, 12, v0
	v_mul_lo_u16 v0, v2, 24
	v_mul_lo_u16 v2, 0x48, v2
	v_sub_nc_u16 v0, v96, v0
	v_and_b32_e32 v2, 0xf8, v2
	v_and_b32_e32 v3, 0xff, v0
	v_lshlrev_b32_e32 v0, 5, v3
	s_clause 0x1
	global_load_dwordx4 v[12:15], v0, s[14:15] offset:352
	global_load_dwordx4 v[16:19], v0, s[14:15] offset:368
	ds_read_b128 v[4:7], v112 offset:8064
	ds_read_b128 v[8:11], v112 offset:9072
	v_add_lshl_u32 v2, v2, v3, 4
	s_waitcnt vmcnt(1) lgkmcnt(1)
	v_mul_f64 v[0:1], v[6:7], v[14:15]
	v_fma_f64 v[24:25], v[4:5], v[12:13], -v[0:1]
	v_mul_f64 v[0:1], v[4:5], v[14:15]
	buffer_store_dword v12, off, s[28:31], 0 offset:1000 ; 4-byte Folded Spill
	buffer_store_dword v13, off, s[28:31], 0 offset:1004 ; 4-byte Folded Spill
	;; [unrolled: 1-line block ×4, first 2 shown]
	v_fma_f64 v[26:27], v[6:7], v[12:13], v[0:1]
	ds_read_b128 v[4:7], v112 offset:16128
	ds_read_b128 v[12:15], v112 offset:17136
	s_waitcnt vmcnt(0) lgkmcnt(1)
	v_mul_f64 v[0:1], v[6:7], v[18:19]
	v_fma_f64 v[28:29], v[4:5], v[16:17], -v[0:1]
	v_mul_f64 v[0:1], v[4:5], v[18:19]
	buffer_store_dword v16, off, s[28:31], 0 offset:1048 ; 4-byte Folded Spill
	buffer_store_dword v17, off, s[28:31], 0 offset:1052 ; 4-byte Folded Spill
	;; [unrolled: 1-line block ×4, first 2 shown]
	v_fma_f64 v[30:31], v[6:7], v[16:17], v[0:1]
	v_and_b32_e32 v0, 0xff, v102
	v_mul_lo_u16 v0, 0xab, v0
	v_lshrrev_b16 v4, 12, v0
	v_mul_lo_u16 v0, v4, 24
	v_sub_nc_u16 v0, v102, v0
	v_and_b32_e32 v5, 0xff, v0
	v_lshlrev_b32_e32 v0, 5, v5
	s_clause 0x1
	global_load_dwordx4 v[16:19], v0, s[14:15] offset:352
	global_load_dwordx4 v[20:23], v0, s[14:15] offset:368
	s_waitcnt vmcnt(1)
	v_mul_f64 v[0:1], v[10:11], v[18:19]
	v_fma_f64 v[32:33], v[8:9], v[16:17], -v[0:1]
	v_mul_f64 v[0:1], v[8:9], v[18:19]
	buffer_store_dword v16, off, s[28:31], 0 offset:1016 ; 4-byte Folded Spill
	buffer_store_dword v17, off, s[28:31], 0 offset:1020 ; 4-byte Folded Spill
	;; [unrolled: 1-line block ×4, first 2 shown]
	v_fma_f64 v[34:35], v[10:11], v[16:17], v[0:1]
	s_waitcnt vmcnt(0) lgkmcnt(0)
	v_mul_f64 v[0:1], v[14:15], v[22:23]
	v_fma_f64 v[36:37], v[12:13], v[20:21], -v[0:1]
	v_mul_f64 v[0:1], v[12:13], v[22:23]
	buffer_store_dword v20, off, s[28:31], 0 offset:1080 ; 4-byte Folded Spill
	buffer_store_dword v21, off, s[28:31], 0 offset:1084 ; 4-byte Folded Spill
	;; [unrolled: 1-line block ×4, first 2 shown]
	v_fma_f64 v[38:39], v[14:15], v[20:21], v[0:1]
	v_and_b32_e32 v0, 0xff, v101
	v_mul_lo_u16 v1, 0xab, v0
	v_mul_lo_u16 v0, v0, 57
	v_lshrrev_b16 v6, 12, v1
	v_mul_lo_u16 v1, v6, 24
	v_sub_nc_u16 v1, v101, v1
	v_and_b32_e32 v7, 0xff, v1
	v_lshlrev_b32_e32 v1, 5, v7
	s_clause 0x1
	global_load_dwordx4 v[18:21], v1, s[14:15] offset:352
	global_load_dwordx4 v[40:43], v1, s[14:15] offset:368
	ds_read_b128 v[8:11], v112 offset:10080
	ds_read_b128 v[12:15], v112 offset:11088
	v_and_b32_e32 v1, 0xff, v114
	s_waitcnt vmcnt(1) lgkmcnt(1)
	v_mul_f64 v[16:17], v[10:11], v[20:21]
	v_fma_f64 v[44:45], v[8:9], v[18:19], -v[16:17]
	v_mul_f64 v[8:9], v[8:9], v[20:21]
	buffer_store_dword v18, off, s[28:31], 0 offset:1032 ; 4-byte Folded Spill
	buffer_store_dword v19, off, s[28:31], 0 offset:1036 ; 4-byte Folded Spill
	;; [unrolled: 1-line block ×4, first 2 shown]
	v_fma_f64 v[46:47], v[10:11], v[18:19], v[8:9]
	ds_read_b128 v[8:11], v112 offset:18144
	ds_read_b128 v[16:19], v112 offset:19152
	s_waitcnt vmcnt(0) lgkmcnt(1)
	v_mul_f64 v[20:21], v[10:11], v[42:43]
	v_fma_f64 v[48:49], v[8:9], v[40:41], -v[20:21]
	v_mul_f64 v[8:9], v[8:9], v[42:43]
	buffer_store_dword v40, off, s[28:31], 0 offset:1064 ; 4-byte Folded Spill
	buffer_store_dword v41, off, s[28:31], 0 offset:1068 ; 4-byte Folded Spill
	;; [unrolled: 1-line block ×4, first 2 shown]
	v_fma_f64 v[50:51], v[10:11], v[40:41], v[8:9]
	v_mul_lo_u16 v8, 0xab, v1
	v_lshrrev_b16 v8, 12, v8
	v_mul_lo_u16 v9, v8, 24
	v_sub_nc_u16 v9, v114, v9
	v_and_b32_e32 v9, 0xff, v9
	v_lshlrev_b32_e32 v10, 5, v9
	s_clause 0x1
	global_load_dwordx4 v[40:43], v10, s[14:15] offset:352
	global_load_dwordx4 v[20:23], v10, s[14:15] offset:368
	s_waitcnt vmcnt(1)
	v_mul_f64 v[10:11], v[14:15], v[42:43]
	v_fma_f64 v[52:53], v[12:13], v[40:41], -v[10:11]
	v_mul_f64 v[10:11], v[12:13], v[42:43]
	buffer_store_dword v40, off, s[28:31], 0 offset:1120 ; 4-byte Folded Spill
	buffer_store_dword v41, off, s[28:31], 0 offset:1124 ; 4-byte Folded Spill
	;; [unrolled: 1-line block ×4, first 2 shown]
	v_mov_b32_e32 v42, 0xaaab
	v_fma_f64 v[54:55], v[14:15], v[40:41], v[10:11]
	s_waitcnt vmcnt(0) lgkmcnt(0)
	v_mul_f64 v[10:11], v[18:19], v[22:23]
	v_fma_f64 v[56:57], v[16:17], v[20:21], -v[10:11]
	v_mul_f64 v[10:11], v[16:17], v[22:23]
	buffer_store_dword v20, off, s[28:31], 0 offset:1104 ; 4-byte Folded Spill
	buffer_store_dword v21, off, s[28:31], 0 offset:1108 ; 4-byte Folded Spill
	;; [unrolled: 1-line block ×4, first 2 shown]
	v_fma_f64 v[58:59], v[18:19], v[20:21], v[10:11]
	v_mul_u32_u24_sdwa v10, v100, v42 dst_sel:DWORD dst_unused:UNUSED_PAD src0_sel:WORD_0 src1_sel:DWORD
	v_lshrrev_b32_e32 v10, 20, v10
	v_mul_lo_u16 v11, v10, 24
	v_sub_nc_u16 v11, v100, v11
	v_lshlrev_b16 v12, 5, v11
	v_and_b32_e32 v12, 0xffff, v12
	v_add_co_u32 v12, s6, s14, v12
	v_add_co_ci_u32_e64 v13, null, s15, 0, s6
	s_clause 0x1
	global_load_dwordx4 v[60:63], v[12:13], off offset:352
	global_load_dwordx4 v[80:83], v[12:13], off offset:368
	ds_read_b128 v[12:15], v112 offset:12096
	ds_read_b128 v[16:19], v112 offset:13104
	s_waitcnt vmcnt(1) lgkmcnt(1)
	v_mul_f64 v[20:21], v[14:15], v[62:63]
	v_fma_f64 v[84:85], v[12:13], v[60:61], -v[20:21]
	v_mul_f64 v[12:13], v[12:13], v[62:63]
	buffer_store_dword v60, off, s[28:31], 0 offset:1144 ; 4-byte Folded Spill
	buffer_store_dword v61, off, s[28:31], 0 offset:1148 ; 4-byte Folded Spill
	;; [unrolled: 1-line block ×4, first 2 shown]
	v_fma_f64 v[86:87], v[14:15], v[60:61], v[12:13]
	ds_read_b128 v[12:15], v112 offset:20160
	ds_read_b128 v[20:23], v112 offset:21168
	s_waitcnt vmcnt(0) lgkmcnt(1)
	v_mul_f64 v[40:41], v[14:15], v[82:83]
	v_fma_f64 v[88:89], v[12:13], v[80:81], -v[40:41]
	v_mul_f64 v[12:13], v[12:13], v[82:83]
	buffer_store_dword v80, off, s[28:31], 0 offset:1164 ; 4-byte Folded Spill
	buffer_store_dword v81, off, s[28:31], 0 offset:1168 ; 4-byte Folded Spill
	;; [unrolled: 1-line block ×4, first 2 shown]
	v_add_f64 v[184:185], v[84:85], v[88:89]
	v_fma_f64 v[90:91], v[14:15], v[80:81], v[12:13]
	v_mul_u32_u24_sdwa v12, v99, v42 dst_sel:DWORD dst_unused:UNUSED_PAD src0_sel:WORD_0 src1_sel:DWORD
	v_lshrrev_b32_e32 v212, 20, v12
	v_mul_lo_u16 v12, v212, 24
	v_sub_nc_u16 v213, v99, v12
	v_lshlrev_b16 v12, 5, v213
	v_add_f64 v[186:187], v[86:87], v[90:91]
	v_and_b32_e32 v12, 0xffff, v12
	v_add_co_u32 v12, s6, s14, v12
	v_add_co_ci_u32_e64 v13, null, s15, 0, s6
	s_clause 0x1
	global_load_dwordx4 v[60:63], v[12:13], off offset:352
	global_load_dwordx4 v[80:83], v[12:13], off offset:368
	s_waitcnt vmcnt(1)
	v_mul_f64 v[12:13], v[18:19], v[62:63]
	v_fma_f64 v[92:93], v[16:17], v[60:61], -v[12:13]
	v_mul_f64 v[12:13], v[16:17], v[62:63]
	buffer_store_dword v60, off, s[28:31], 0 offset:1188 ; 4-byte Folded Spill
	buffer_store_dword v61, off, s[28:31], 0 offset:1192 ; 4-byte Folded Spill
	;; [unrolled: 1-line block ×4, first 2 shown]
	v_fma_f64 v[94:95], v[18:19], v[60:61], v[12:13]
	s_waitcnt vmcnt(0) lgkmcnt(0)
	v_mul_f64 v[12:13], v[22:23], v[82:83]
	v_fma_f64 v[180:181], v[20:21], v[80:81], -v[12:13]
	v_mul_f64 v[12:13], v[20:21], v[82:83]
	buffer_store_dword v80, off, s[28:31], 0 offset:1208 ; 4-byte Folded Spill
	buffer_store_dword v81, off, s[28:31], 0 offset:1212 ; 4-byte Folded Spill
	;; [unrolled: 1-line block ×4, first 2 shown]
	v_fma_f64 v[182:183], v[22:23], v[80:81], v[12:13]
	v_mul_u32_u24_sdwa v12, v98, v42 dst_sel:DWORD dst_unused:UNUSED_PAD src0_sel:WORD_0 src1_sel:DWORD
	v_lshrrev_b32_e32 v214, 20, v12
	v_mul_lo_u16 v12, v214, 24
	v_sub_nc_u16 v215, v98, v12
	v_lshlrev_b16 v12, 5, v215
	v_and_b32_e32 v12, 0xffff, v12
	v_add_co_u32 v12, s6, s14, v12
	v_add_co_ci_u32_e64 v13, null, s15, 0, s6
	s_clause 0x1
	global_load_dwordx4 v[60:63], v[12:13], off offset:352
	global_load_dwordx4 v[80:83], v[12:13], off offset:368
	ds_read_b128 v[12:15], v112 offset:14112
	ds_read_b128 v[16:19], v112 offset:15120
	s_waitcnt vmcnt(1) lgkmcnt(1)
	v_mul_f64 v[20:21], v[14:15], v[62:63]
	v_fma_f64 v[192:193], v[12:13], v[60:61], -v[20:21]
	v_mul_f64 v[12:13], v[12:13], v[62:63]
	buffer_store_dword v60, off, s[28:31], 0 offset:1224 ; 4-byte Folded Spill
	buffer_store_dword v61, off, s[28:31], 0 offset:1228 ; 4-byte Folded Spill
	;; [unrolled: 1-line block ×4, first 2 shown]
	v_fma_f64 v[194:195], v[14:15], v[60:61], v[12:13]
	ds_read_b128 v[12:15], v112 offset:22176
	ds_read_b128 v[20:23], v112 offset:23184
	s_waitcnt vmcnt(0) lgkmcnt(1)
	v_mul_f64 v[40:41], v[14:15], v[82:83]
	v_fma_f64 v[196:197], v[12:13], v[80:81], -v[40:41]
	v_mul_f64 v[12:13], v[12:13], v[82:83]
	buffer_store_dword v80, off, s[28:31], 0 offset:1240 ; 4-byte Folded Spill
	buffer_store_dword v81, off, s[28:31], 0 offset:1244 ; 4-byte Folded Spill
	;; [unrolled: 1-line block ×4, first 2 shown]
	v_add_f64 v[208:209], v[192:193], v[196:197]
	v_fma_f64 v[198:199], v[14:15], v[80:81], v[12:13]
	v_mul_u32_u24_sdwa v12, v97, v42 dst_sel:DWORD dst_unused:UNUSED_PAD src0_sel:WORD_0 src1_sel:DWORD
	v_lshrrev_b32_e32 v216, 20, v12
	v_mul_lo_u16 v12, v216, 24
	v_sub_nc_u16 v217, v97, v12
	v_lshlrev_b16 v12, 5, v217
	v_add_f64 v[210:211], v[194:195], v[198:199]
	v_and_b32_e32 v12, 0xffff, v12
	v_add_co_u32 v12, s6, s14, v12
	v_add_co_ci_u32_e64 v13, null, s15, 0, s6
	s_clause 0x1
	global_load_dwordx4 v[40:43], v[12:13], off offset:352
	global_load_dwordx4 v[60:63], v[12:13], off offset:368
	s_waitcnt vmcnt(1)
	v_mul_f64 v[12:13], v[18:19], v[42:43]
	v_fma_f64 v[200:201], v[16:17], v[40:41], -v[12:13]
	v_mul_f64 v[12:13], v[16:17], v[42:43]
	buffer_store_dword v40, off, s[28:31], 0 offset:1256 ; 4-byte Folded Spill
	buffer_store_dword v41, off, s[28:31], 0 offset:1260 ; 4-byte Folded Spill
	;; [unrolled: 1-line block ×4, first 2 shown]
	v_fma_f64 v[202:203], v[18:19], v[40:41], v[12:13]
	s_waitcnt vmcnt(0) lgkmcnt(0)
	v_mul_f64 v[12:13], v[22:23], v[62:63]
	v_fma_f64 v[204:205], v[20:21], v[60:61], -v[12:13]
	v_mul_f64 v[12:13], v[20:21], v[62:63]
	buffer_store_dword v60, off, s[28:31], 0 offset:1272 ; 4-byte Folded Spill
	buffer_store_dword v61, off, s[28:31], 0 offset:1276 ; 4-byte Folded Spill
	;; [unrolled: 1-line block ×4, first 2 shown]
	v_add_f64 v[20:21], v[24:25], v[28:29]
	v_add_f64 v[62:63], v[46:47], v[50:51]
	v_fma_f64 v[206:207], v[22:23], v[60:61], v[12:13]
	ds_read_b128 v[12:15], v112
	ds_read_b128 v[16:19], v112 offset:1008
	v_add_f64 v[60:61], v[44:45], v[48:49]
	s_waitcnt lgkmcnt(1)
	v_fma_f64 v[22:23], v[20:21], -0.5, v[12:13]
	v_add_f64 v[20:21], v[26:27], v[30:31]
	v_add_f64 v[12:13], v[12:13], v[24:25]
	v_fma_f64 v[40:41], v[20:21], -0.5, v[14:15]
	v_add_f64 v[14:15], v[14:15], v[26:27]
	v_add_f64 v[26:27], v[26:27], -v[30:31]
	v_add_f64 v[12:13], v[12:13], v[28:29]
	v_add_f64 v[28:29], v[24:25], -v[28:29]
	v_add_f64 v[14:15], v[14:15], v[30:31]
	v_fma_f64 v[20:21], v[26:27], s[0:1], v[22:23]
	v_fma_f64 v[24:25], v[26:27], s[2:3], v[22:23]
	;; [unrolled: 1-line block ×4, first 2 shown]
	v_add_f64 v[28:29], v[32:33], v[36:37]
	s_waitcnt lgkmcnt(0)
	v_fma_f64 v[30:31], v[28:29], -0.5, v[16:17]
	v_add_f64 v[28:29], v[34:35], v[38:39]
	v_add_f64 v[16:17], v[16:17], v[32:33]
	v_fma_f64 v[40:41], v[28:29], -0.5, v[18:19]
	v_add_f64 v[18:19], v[18:19], v[34:35]
	v_add_f64 v[34:35], v[34:35], -v[38:39]
	v_add_f64 v[16:17], v[16:17], v[36:37]
	v_add_f64 v[36:37], v[32:33], -v[36:37]
	v_add_f64 v[18:19], v[18:19], v[38:39]
	v_fma_f64 v[28:29], v[34:35], s[0:1], v[30:31]
	v_fma_f64 v[32:33], v[34:35], s[2:3], v[30:31]
	v_fma_f64 v[30:31], v[36:37], s[2:3], v[40:41]
	v_fma_f64 v[34:35], v[36:37], s[0:1], v[40:41]
	ds_read_b128 v[36:39], v112 offset:2016
	ds_read_b128 v[40:43], v112 offset:3024
	s_waitcnt lgkmcnt(1)
	v_fma_f64 v[62:63], v[62:63], -0.5, v[38:39]
	v_add_f64 v[38:39], v[38:39], v[46:47]
	v_fma_f64 v[60:61], v[60:61], -0.5, v[36:37]
	v_add_f64 v[36:37], v[36:37], v[44:45]
	v_add_f64 v[46:47], v[46:47], -v[50:51]
	v_add_f64 v[38:39], v[38:39], v[50:51]
	v_add_f64 v[50:51], v[44:45], -v[48:49]
	v_add_f64 v[36:37], v[36:37], v[48:49]
	v_fma_f64 v[44:45], v[46:47], s[0:1], v[60:61]
	v_fma_f64 v[48:49], v[46:47], s[2:3], v[60:61]
	v_add_f64 v[60:61], v[52:53], v[56:57]
	v_fma_f64 v[46:47], v[50:51], s[2:3], v[62:63]
	v_fma_f64 v[50:51], v[50:51], s[0:1], v[62:63]
	v_add_f64 v[62:63], v[54:55], v[58:59]
	s_waitcnt lgkmcnt(0)
	v_fma_f64 v[60:61], v[60:61], -0.5, v[40:41]
	v_add_f64 v[40:41], v[40:41], v[52:53]
	v_fma_f64 v[62:63], v[62:63], -0.5, v[42:43]
	v_add_f64 v[42:43], v[42:43], v[54:55]
	v_add_f64 v[54:55], v[54:55], -v[58:59]
	v_add_f64 v[40:41], v[40:41], v[56:57]
	v_add_f64 v[42:43], v[42:43], v[58:59]
	v_add_f64 v[58:59], v[52:53], -v[56:57]
	v_fma_f64 v[52:53], v[54:55], s[0:1], v[60:61]
	v_fma_f64 v[56:57], v[54:55], s[2:3], v[60:61]
	;; [unrolled: 1-line block ×4, first 2 shown]
	ds_read_b128 v[60:63], v112 offset:4032
	ds_read_b128 v[80:83], v112 offset:5040
	s_waitcnt lgkmcnt(1)
	v_fma_f64 v[186:187], v[186:187], -0.5, v[62:63]
	v_add_f64 v[62:63], v[62:63], v[86:87]
	v_fma_f64 v[184:185], v[184:185], -0.5, v[60:61]
	v_add_f64 v[60:61], v[60:61], v[84:85]
	v_add_f64 v[86:87], v[86:87], -v[90:91]
	v_add_f64 v[62:63], v[62:63], v[90:91]
	v_add_f64 v[90:91], v[84:85], -v[88:89]
	v_add_f64 v[60:61], v[60:61], v[88:89]
	v_fma_f64 v[84:85], v[86:87], s[0:1], v[184:185]
	v_fma_f64 v[88:89], v[86:87], s[2:3], v[184:185]
	v_add_f64 v[184:185], v[92:93], v[180:181]
	v_fma_f64 v[86:87], v[90:91], s[2:3], v[186:187]
	v_fma_f64 v[90:91], v[90:91], s[0:1], v[186:187]
	v_add_f64 v[186:187], v[94:95], v[182:183]
	s_waitcnt lgkmcnt(0)
	v_fma_f64 v[184:185], v[184:185], -0.5, v[80:81]
	v_add_f64 v[80:81], v[80:81], v[92:93]
	v_fma_f64 v[186:187], v[186:187], -0.5, v[82:83]
	v_add_f64 v[82:83], v[82:83], v[94:95]
	v_add_f64 v[94:95], v[94:95], -v[182:183]
	v_add_f64 v[80:81], v[80:81], v[180:181]
	v_add_f64 v[82:83], v[82:83], v[182:183]
	v_add_f64 v[182:183], v[92:93], -v[180:181]
	v_fma_f64 v[92:93], v[94:95], s[0:1], v[184:185]
	v_fma_f64 v[180:181], v[94:95], s[2:3], v[184:185]
	;; [unrolled: 1-line block ×4, first 2 shown]
	ds_read_b128 v[184:187], v112 offset:6048
	ds_read_b128 v[188:191], v112 offset:7056
	s_waitcnt lgkmcnt(0)
	s_waitcnt_vscnt null, 0x0
	s_barrier
	buffer_gl0_inv
	ds_write_b128 v2, v[12:15]
	ds_write_b128 v2, v[20:23] offset:384
	buffer_store_dword v2, off, s[28:31], 0 offset:740 ; 4-byte Folded Spill
	ds_write_b128 v2, v[24:27] offset:768
	v_mov_b32_e32 v2, 0x48
	v_mul_u32_u24_sdwa v3, v4, v2 dst_sel:DWORD dst_unused:UNUSED_PAD src0_sel:WORD_0 src1_sel:DWORD
	v_add_lshl_u32 v3, v3, v5, 4
	ds_write_b128 v3, v[16:19]
	ds_write_b128 v3, v[28:31] offset:384
	v_fma_f64 v[210:211], v[210:211], -0.5, v[186:187]
	v_add_f64 v[186:187], v[186:187], v[194:195]
	v_fma_f64 v[208:209], v[208:209], -0.5, v[184:185]
	v_add_f64 v[184:185], v[184:185], v[192:193]
	v_add_f64 v[194:195], v[194:195], -v[198:199]
	buffer_store_dword v3, off, s[28:31], 0 offset:776 ; 4-byte Folded Spill
	ds_write_b128 v3, v[32:35] offset:768
	v_mul_u32_u24_sdwa v3, v6, v2 dst_sel:DWORD dst_unused:UNUSED_PAD src0_sel:WORD_0 src1_sel:DWORD
	v_mul_u32_u24_sdwa v2, v8, v2 dst_sel:DWORD dst_unused:UNUSED_PAD src0_sel:WORD_0 src1_sel:DWORD
	v_add_lshl_u32 v3, v3, v7, 4
	v_add_lshl_u32 v2, v2, v9, 4
	ds_write_b128 v3, v[36:39]
	ds_write_b128 v3, v[44:47] offset:384
	buffer_store_dword v3, off, s[28:31], 0 offset:780 ; 4-byte Folded Spill
	ds_write_b128 v3, v[48:51] offset:768
	ds_write_b128 v2, v[40:43]
	ds_write_b128 v2, v[52:55] offset:384
	buffer_store_dword v2, off, s[28:31], 0 offset:784 ; 4-byte Folded Spill
	ds_write_b128 v2, v[56:59] offset:768
	v_add_f64 v[186:187], v[186:187], v[198:199]
	v_add_f64 v[198:199], v[192:193], -v[196:197]
	v_add_f64 v[184:185], v[184:185], v[196:197]
	v_fma_f64 v[192:193], v[194:195], s[0:1], v[208:209]
	v_fma_f64 v[196:197], v[194:195], s[2:3], v[208:209]
	v_add_f64 v[208:209], v[200:201], v[204:205]
	v_mad_u16 v2, 0x48, v10, v11
	v_mov_b32_e32 v10, 4
	v_lshlrev_b32_sdwa v2, v10, v2 dst_sel:DWORD dst_unused:UNUSED_PAD src0_sel:DWORD src1_sel:WORD_0
	ds_write_b128 v2, v[60:63]
	ds_write_b128 v2, v[84:87] offset:384
	buffer_store_dword v2, off, s[28:31], 0 offset:804 ; 4-byte Folded Spill
	ds_write_b128 v2, v[88:91] offset:768
	v_mad_u16 v2, 0x48, v212, v213
	v_fma_f64 v[194:195], v[198:199], s[2:3], v[210:211]
	v_fma_f64 v[198:199], v[198:199], s[0:1], v[210:211]
	v_add_f64 v[210:211], v[202:203], v[206:207]
	v_lshlrev_b32_sdwa v2, v10, v2 dst_sel:DWORD dst_unused:UNUSED_PAD src0_sel:DWORD src1_sel:WORD_0
	v_fma_f64 v[208:209], v[208:209], -0.5, v[188:189]
	v_add_f64 v[188:189], v[188:189], v[200:201]
	ds_write_b128 v2, v[80:83]
	ds_write_b128 v2, v[92:95] offset:384
	buffer_store_dword v2, off, s[28:31], 0 offset:824 ; 4-byte Folded Spill
	ds_write_b128 v2, v[180:183] offset:768
	v_mad_u16 v2, 0x48, v214, v215
	v_lshlrev_b32_sdwa v2, v10, v2 dst_sel:DWORD dst_unused:UNUSED_PAD src0_sel:DWORD src1_sel:WORD_0
	ds_write_b128 v2, v[184:187]
	ds_write_b128 v2, v[192:195] offset:384
	buffer_store_dword v2, off, s[28:31], 0 offset:828 ; 4-byte Folded Spill
	ds_write_b128 v2, v[196:199] offset:768
	v_fma_f64 v[210:211], v[210:211], -0.5, v[190:191]
	v_add_f64 v[190:191], v[190:191], v[202:203]
	v_add_f64 v[202:203], v[202:203], -v[206:207]
	v_add_f64 v[188:189], v[188:189], v[204:205]
	v_mad_u16 v2, 0x48, v216, v217
	v_lshlrev_b32_sdwa v2, v10, v2 dst_sel:DWORD dst_unused:UNUSED_PAD src0_sel:DWORD src1_sel:WORD_0
	v_add_f64 v[190:191], v[190:191], v[206:207]
	v_add_f64 v[206:207], v[200:201], -v[204:205]
	v_fma_f64 v[200:201], v[202:203], s[0:1], v[208:209]
	v_fma_f64 v[204:205], v[202:203], s[2:3], v[208:209]
	;; [unrolled: 1-line block ×4, first 2 shown]
	ds_write_b128 v2, v[188:191]
	ds_write_b128 v2, v[200:203] offset:384
	buffer_store_dword v2, off, s[28:31], 0 offset:832 ; 4-byte Folded Spill
	ds_write_b128 v2, v[204:207] offset:768
	s_waitcnt lgkmcnt(0)
	s_waitcnt_vscnt null, 0x0
	s_barrier
	buffer_gl0_inv
	s_clause 0x1
	global_load_dwordx4 v[15:18], v115, s[14:15] offset:1120
	global_load_dwordx4 v[28:31], v115, s[14:15] offset:1136
	ds_read_b128 v[2:5], v112 offset:8064
	ds_read_b128 v[11:14], v112 offset:9072
	s_waitcnt vmcnt(1) lgkmcnt(1)
	v_mul_f64 v[6:7], v[4:5], v[17:18]
	v_fma_f64 v[22:23], v[2:3], v[15:16], -v[6:7]
	v_mul_f64 v[2:3], v[2:3], v[17:18]
	buffer_store_dword v15, off, s[28:31], 0 offset:724 ; 4-byte Folded Spill
	buffer_store_dword v16, off, s[28:31], 0 offset:728 ; 4-byte Folded Spill
	;; [unrolled: 1-line block ×4, first 2 shown]
	v_fma_f64 v[24:25], v[4:5], v[15:16], v[2:3]
	ds_read_b128 v[2:5], v112 offset:16128
	ds_read_b128 v[15:18], v112 offset:17136
	s_waitcnt vmcnt(0) lgkmcnt(1)
	v_mul_f64 v[6:7], v[4:5], v[30:31]
	v_fma_f64 v[26:27], v[2:3], v[28:29], -v[6:7]
	v_mul_f64 v[2:3], v[2:3], v[30:31]
	buffer_store_dword v28, off, s[28:31], 0 offset:708 ; 4-byte Folded Spill
	buffer_store_dword v29, off, s[28:31], 0 offset:712 ; 4-byte Folded Spill
	;; [unrolled: 1-line block ×4, first 2 shown]
	v_fma_f64 v[28:29], v[4:5], v[28:29], v[2:3]
	v_add_co_u32 v2, s6, v113, -9
	v_add_co_ci_u32_e64 v3, null, 0, -1, s6
	v_cndmask_b32_e32 v8, v2, v102, vcc_lo
	v_cndmask_b32_e32 v9, v3, v103, vcc_lo
	v_lshlrev_b64 v[2:3], 5, v[8:9]
	v_lshrrev_b16 v9, 12, v0
	v_add_co_u32 v2, vcc_lo, s14, v2
	v_add_co_ci_u32_e32 v3, vcc_lo, s15, v3, vcc_lo
	s_clause 0x1
	global_load_dwordx4 v[4:7], v[2:3], off offset:1120
	global_load_dwordx4 v[36:39], v[2:3], off offset:1136
	v_mul_lo_u16 v0, 0x48, v9
	v_cmp_lt_u16_e32 vcc_lo, 8, v96
	v_sub_nc_u16 v0, v101, v0
	s_waitcnt vmcnt(1)
	v_mul_f64 v[2:3], v[13:14], v[6:7]
	v_fma_f64 v[32:33], v[11:12], v[4:5], -v[2:3]
	v_mul_f64 v[2:3], v[11:12], v[6:7]
	buffer_store_dword v4, off, s[28:31], 0 offset:744 ; 4-byte Folded Spill
	buffer_store_dword v5, off, s[28:31], 0 offset:748 ; 4-byte Folded Spill
	;; [unrolled: 1-line block ×4, first 2 shown]
	v_and_b32_e32 v11, 0xff, v0
	v_lshlrev_b32_e32 v0, 5, v11
	v_fma_f64 v[30:31], v[13:14], v[4:5], v[2:3]
	s_waitcnt vmcnt(0) lgkmcnt(0)
	v_mul_f64 v[2:3], v[17:18], v[38:39]
	v_fma_f64 v[34:35], v[15:16], v[36:37], -v[2:3]
	v_mul_f64 v[2:3], v[15:16], v[38:39]
	buffer_store_dword v36, off, s[28:31], 0 offset:760 ; 4-byte Folded Spill
	buffer_store_dword v37, off, s[28:31], 0 offset:764 ; 4-byte Folded Spill
	;; [unrolled: 1-line block ×4, first 2 shown]
	v_mov_b32_e32 v38, 0xe38f
	v_fma_f64 v[36:37], v[17:18], v[36:37], v[2:3]
	s_clause 0x1
	global_load_dwordx4 v[18:21], v0, s[14:15] offset:1120
	global_load_dwordx4 v[48:51], v0, s[14:15] offset:1136
	ds_read_b128 v[2:5], v112 offset:10080
	ds_read_b128 v[14:17], v112 offset:11088
	v_mul_lo_u16 v0, v1, 57
	v_lshrrev_b16 v12, 12, v0
	v_mul_lo_u16 v0, 0x48, v12
	v_sub_nc_u16 v0, v114, v0
	v_and_b32_e32 v13, 0xff, v0
	v_lshlrev_b32_e32 v0, 5, v13
	s_waitcnt vmcnt(1) lgkmcnt(1)
	v_mul_f64 v[6:7], v[4:5], v[20:21]
	v_fma_f64 v[44:45], v[2:3], v[18:19], -v[6:7]
	v_mul_f64 v[2:3], v[2:3], v[20:21]
	buffer_store_dword v18, off, s[28:31], 0 offset:788 ; 4-byte Folded Spill
	buffer_store_dword v19, off, s[28:31], 0 offset:792 ; 4-byte Folded Spill
	;; [unrolled: 1-line block ×4, first 2 shown]
	v_fma_f64 v[40:41], v[4:5], v[18:19], v[2:3]
	ds_read_b128 v[2:5], v112 offset:18144
	ds_read_b128 v[18:21], v112 offset:19152
	s_waitcnt vmcnt(0) lgkmcnt(1)
	v_mul_f64 v[6:7], v[4:5], v[50:51]
	v_fma_f64 v[46:47], v[2:3], v[48:49], -v[6:7]
	v_mul_f64 v[2:3], v[2:3], v[50:51]
	buffer_store_dword v48, off, s[28:31], 0 offset:808 ; 4-byte Folded Spill
	buffer_store_dword v49, off, s[28:31], 0 offset:812 ; 4-byte Folded Spill
	;; [unrolled: 1-line block ×4, first 2 shown]
	v_fma_f64 v[42:43], v[4:5], v[48:49], v[2:3]
	s_clause 0x1
	global_load_dwordx4 v[2:5], v0, s[14:15] offset:1120
	global_load_dwordx4 v[48:51], v0, s[14:15] offset:1136
	s_waitcnt vmcnt(1)
	v_mul_f64 v[0:1], v[16:17], v[4:5]
	v_fma_f64 v[56:57], v[14:15], v[2:3], -v[0:1]
	v_mul_f64 v[0:1], v[14:15], v[4:5]
	buffer_store_dword v2, off, s[28:31], 0 offset:836 ; 4-byte Folded Spill
	buffer_store_dword v3, off, s[28:31], 0 offset:840 ; 4-byte Folded Spill
	;; [unrolled: 1-line block ×4, first 2 shown]
	v_fma_f64 v[52:53], v[16:17], v[2:3], v[0:1]
	s_waitcnt vmcnt(0) lgkmcnt(0)
	v_mul_f64 v[0:1], v[20:21], v[50:51]
	v_fma_f64 v[58:59], v[18:19], v[48:49], -v[0:1]
	v_mul_f64 v[0:1], v[18:19], v[50:51]
	buffer_store_dword v48, off, s[28:31], 0 offset:852 ; 4-byte Folded Spill
	buffer_store_dword v49, off, s[28:31], 0 offset:856 ; 4-byte Folded Spill
	;; [unrolled: 1-line block ×4, first 2 shown]
	v_fma_f64 v[54:55], v[20:21], v[48:49], v[0:1]
	v_mul_u32_u24_sdwa v0, v100, v38 dst_sel:DWORD dst_unused:UNUSED_PAD src0_sel:WORD_0 src1_sel:DWORD
	v_lshrrev_b32_e32 v14, 22, v0
	v_mul_lo_u16 v0, 0x48, v14
	v_sub_nc_u16 v15, v100, v0
	v_lshlrev_b16 v0, 5, v15
	v_and_b32_e32 v0, 0xffff, v0
	v_add_co_u32 v0, s6, s14, v0
	v_add_co_ci_u32_e64 v1, null, s15, 0, s6
	s_clause 0x1
	global_load_dwordx4 v[18:21], v[0:1], off offset:1120
	global_load_dwordx4 v[48:51], v[0:1], off offset:1136
	ds_read_b128 v[0:3], v112 offset:12096
	ds_read_b128 v[4:7], v112 offset:13104
	s_waitcnt vmcnt(1) lgkmcnt(1)
	v_mul_f64 v[16:17], v[2:3], v[20:21]
	v_fma_f64 v[84:85], v[0:1], v[18:19], -v[16:17]
	v_mul_f64 v[0:1], v[0:1], v[20:21]
	buffer_store_dword v18, off, s[28:31], 0 offset:868 ; 4-byte Folded Spill
	buffer_store_dword v19, off, s[28:31], 0 offset:872 ; 4-byte Folded Spill
	;; [unrolled: 1-line block ×4, first 2 shown]
	v_fma_f64 v[80:81], v[2:3], v[18:19], v[0:1]
	ds_read_b128 v[0:3], v112 offset:20160
	ds_read_b128 v[16:19], v112 offset:21168
	s_waitcnt vmcnt(0) lgkmcnt(1)
	v_mul_f64 v[20:21], v[2:3], v[50:51]
	v_fma_f64 v[86:87], v[0:1], v[48:49], -v[20:21]
	v_mul_f64 v[0:1], v[0:1], v[50:51]
	buffer_store_dword v48, off, s[28:31], 0 offset:884 ; 4-byte Folded Spill
	buffer_store_dword v49, off, s[28:31], 0 offset:888 ; 4-byte Folded Spill
	;; [unrolled: 1-line block ×4, first 2 shown]
	v_add_f64 v[88:89], v[84:85], v[86:87]
	v_fma_f64 v[82:83], v[2:3], v[48:49], v[0:1]
	v_mul_u32_u24_sdwa v0, v99, v38 dst_sel:DWORD dst_unused:UNUSED_PAD src0_sel:WORD_0 src1_sel:DWORD
	v_lshrrev_b32_e32 v103, 22, v0
	v_mul_lo_u16 v0, 0x48, v103
	v_sub_nc_u16 v208, v99, v0
	v_lshlrev_b16 v0, 5, v208
	v_add_f64 v[90:91], v[80:81], v[82:83]
	v_and_b32_e32 v0, 0xffff, v0
	v_add_co_u32 v0, s6, s14, v0
	v_add_co_ci_u32_e64 v1, null, s15, 0, s6
	s_clause 0x1
	global_load_dwordx4 v[48:51], v[0:1], off offset:1120
	global_load_dwordx4 v[60:63], v[0:1], off offset:1136
	s_waitcnt vmcnt(1)
	v_mul_f64 v[0:1], v[6:7], v[50:51]
	v_fma_f64 v[99:100], v[4:5], v[48:49], -v[0:1]
	v_mul_f64 v[0:1], v[4:5], v[50:51]
	buffer_store_dword v48, off, s[28:31], 0 offset:900 ; 4-byte Folded Spill
	buffer_store_dword v49, off, s[28:31], 0 offset:904 ; 4-byte Folded Spill
	;; [unrolled: 1-line block ×4, first 2 shown]
	v_fma_f64 v[92:93], v[6:7], v[48:49], v[0:1]
	s_waitcnt vmcnt(0) lgkmcnt(0)
	v_mul_f64 v[0:1], v[18:19], v[62:63]
	v_fma_f64 v[101:102], v[16:17], v[60:61], -v[0:1]
	v_mul_f64 v[0:1], v[16:17], v[62:63]
	buffer_store_dword v60, off, s[28:31], 0 offset:916 ; 4-byte Folded Spill
	buffer_store_dword v61, off, s[28:31], 0 offset:920 ; 4-byte Folded Spill
	;; [unrolled: 1-line block ×4, first 2 shown]
	v_fma_f64 v[94:95], v[18:19], v[60:61], v[0:1]
	v_mul_u32_u24_sdwa v0, v98, v38 dst_sel:DWORD dst_unused:UNUSED_PAD src0_sel:WORD_0 src1_sel:DWORD
	v_lshrrev_b32_e32 v209, 22, v0
	v_mul_lo_u16 v0, 0x48, v209
	v_sub_nc_u16 v210, v98, v0
	v_lshlrev_b16 v0, 5, v210
	v_add_f64 v[184:185], v[92:93], -v[94:95]
	v_and_b32_e32 v0, 0xffff, v0
	v_add_co_u32 v0, s6, s14, v0
	v_add_co_ci_u32_e64 v1, null, s15, 0, s6
	s_clause 0x1
	global_load_dwordx4 v[18:21], v[0:1], off offset:1120
	global_load_dwordx4 v[48:51], v[0:1], off offset:1136
	ds_read_b128 v[0:3], v112 offset:14112
	ds_read_b128 v[4:7], v112 offset:15120
	s_waitcnt vmcnt(1) lgkmcnt(1)
	v_mul_f64 v[16:17], v[2:3], v[20:21]
	v_fma_f64 v[180:181], v[0:1], v[18:19], -v[16:17]
	v_mul_f64 v[0:1], v[0:1], v[20:21]
	buffer_store_dword v18, off, s[28:31], 0 offset:932 ; 4-byte Folded Spill
	buffer_store_dword v19, off, s[28:31], 0 offset:936 ; 4-byte Folded Spill
	buffer_store_dword v20, off, s[28:31], 0 offset:940 ; 4-byte Folded Spill
	buffer_store_dword v21, off, s[28:31], 0 offset:944 ; 4-byte Folded Spill
	v_fma_f64 v[182:183], v[2:3], v[18:19], v[0:1]
	ds_read_b128 v[0:3], v112 offset:22176
	ds_read_b128 v[16:19], v112 offset:23184
	s_waitcnt vmcnt(0) lgkmcnt(1)
	v_mul_f64 v[20:21], v[2:3], v[50:51]
	v_fma_f64 v[192:193], v[0:1], v[48:49], -v[20:21]
	v_mul_f64 v[0:1], v[0:1], v[50:51]
	buffer_store_dword v48, off, s[28:31], 0 offset:948 ; 4-byte Folded Spill
	buffer_store_dword v49, off, s[28:31], 0 offset:952 ; 4-byte Folded Spill
	;; [unrolled: 1-line block ×4, first 2 shown]
	v_fma_f64 v[188:189], v[2:3], v[48:49], v[0:1]
	v_mul_u32_u24_sdwa v0, v97, v38 dst_sel:DWORD dst_unused:UNUSED_PAD src0_sel:WORD_0 src1_sel:DWORD
	v_lshrrev_b32_e32 v0, 22, v0
	v_mul_lo_u16 v0, 0x48, v0
	v_sub_nc_u16 v211, v97, v0
	v_add_f64 v[97:98], v[80:81], -v[82:83]
	v_lshlrev_b16 v0, 5, v211
	v_add_f64 v[190:191], v[182:183], v[188:189]
	v_and_b32_e32 v0, 0xffff, v0
	v_add_co_u32 v0, s6, s14, v0
	v_add_co_ci_u32_e64 v1, null, s15, 0, s6
	s_clause 0x1
	global_load_dwordx4 v[48:51], v[0:1], off offset:1120
	global_load_dwordx4 v[60:63], v[0:1], off offset:1136
	s_waitcnt vmcnt(1)
	v_mul_f64 v[0:1], v[6:7], v[50:51]
	v_fma_f64 v[200:201], v[4:5], v[48:49], -v[0:1]
	v_mul_f64 v[0:1], v[4:5], v[50:51]
	buffer_store_dword v48, off, s[28:31], 0 offset:964 ; 4-byte Folded Spill
	buffer_store_dword v49, off, s[28:31], 0 offset:968 ; 4-byte Folded Spill
	;; [unrolled: 1-line block ×4, first 2 shown]
	v_add_f64 v[50:51], v[40:41], v[42:43]
	v_fma_f64 v[202:203], v[6:7], v[48:49], v[0:1]
	s_waitcnt vmcnt(0) lgkmcnt(0)
	v_mul_f64 v[0:1], v[18:19], v[62:63]
	v_fma_f64 v[204:205], v[16:17], v[60:61], -v[0:1]
	v_mul_f64 v[0:1], v[16:17], v[62:63]
	buffer_store_dword v60, off, s[28:31], 0 offset:980 ; 4-byte Folded Spill
	buffer_store_dword v61, off, s[28:31], 0 offset:984 ; 4-byte Folded Spill
	;; [unrolled: 1-line block ×4, first 2 shown]
	v_add_f64 v[16:17], v[22:23], v[26:27]
	v_fma_f64 v[206:207], v[18:19], v[60:61], v[0:1]
	ds_read_b128 v[0:3], v112
	ds_read_b128 v[4:7], v112 offset:1008
	v_add_f64 v[60:61], v[40:41], -v[42:43]
	s_waitcnt lgkmcnt(1)
	v_fma_f64 v[38:39], v[16:17], -0.5, v[0:1]
	v_add_f64 v[16:17], v[24:25], v[28:29]
	v_add_f64 v[0:1], v[0:1], v[22:23]
	v_fma_f64 v[48:49], v[16:17], -0.5, v[2:3]
	v_add_f64 v[16:17], v[0:1], v[26:27]
	v_add_f64 v[0:1], v[22:23], -v[26:27]
	v_add_f64 v[2:3], v[2:3], v[24:25]
	v_add_f64 v[24:25], v[24:25], -v[28:29]
	v_fma_f64 v[22:23], v[0:1], s[2:3], v[48:49]
	v_fma_f64 v[26:27], v[0:1], s[0:1], v[48:49]
	v_add_f64 v[0:1], v[32:33], v[34:35]
	v_add_f64 v[18:19], v[2:3], v[28:29]
	;; [unrolled: 1-line block ×3, first 2 shown]
	v_fma_f64 v[20:21], v[24:25], s[0:1], v[38:39]
	v_fma_f64 v[24:25], v[24:25], s[2:3], v[38:39]
	v_add_f64 v[38:39], v[30:31], -v[36:37]
	v_add_f64 v[48:49], v[44:45], v[46:47]
	s_waitcnt lgkmcnt(0)
	v_fma_f64 v[0:1], v[0:1], -0.5, v[4:5]
	v_add_f64 v[4:5], v[4:5], v[32:33]
	v_fma_f64 v[2:3], v[2:3], -0.5, v[6:7]
	v_add_f64 v[6:7], v[6:7], v[30:31]
	v_add_f64 v[28:29], v[4:5], v[34:35]
	v_add_f64 v[4:5], v[32:33], -v[34:35]
	v_add_f64 v[30:31], v[6:7], v[36:37]
	v_fma_f64 v[32:33], v[38:39], s[0:1], v[0:1]
	v_fma_f64 v[36:37], v[38:39], s[2:3], v[0:1]
	;; [unrolled: 1-line block ×4, first 2 shown]
	ds_read_b128 v[0:3], v112 offset:2016
	ds_read_b128 v[4:7], v112 offset:3024
	s_waitcnt lgkmcnt(1)
	v_fma_f64 v[48:49], v[48:49], -0.5, v[0:1]
	v_add_f64 v[0:1], v[0:1], v[44:45]
	v_fma_f64 v[50:51], v[50:51], -0.5, v[2:3]
	v_add_f64 v[2:3], v[2:3], v[40:41]
	v_add_f64 v[40:41], v[0:1], v[46:47]
	v_add_f64 v[0:1], v[44:45], -v[46:47]
	v_add_f64 v[42:43], v[2:3], v[42:43]
	v_add_f64 v[2:3], v[52:53], v[54:55]
	v_fma_f64 v[44:45], v[60:61], s[0:1], v[48:49]
	v_fma_f64 v[48:49], v[60:61], s[2:3], v[48:49]
	v_add_f64 v[60:61], v[52:53], -v[54:55]
	v_fma_f64 v[46:47], v[0:1], s[2:3], v[50:51]
	v_fma_f64 v[50:51], v[0:1], s[0:1], v[50:51]
	v_add_f64 v[0:1], v[56:57], v[58:59]
	s_waitcnt lgkmcnt(0)
	v_fma_f64 v[2:3], v[2:3], -0.5, v[6:7]
	v_add_f64 v[6:7], v[6:7], v[52:53]
	v_fma_f64 v[0:1], v[0:1], -0.5, v[4:5]
	v_add_f64 v[4:5], v[4:5], v[56:57]
	v_add_f64 v[54:55], v[6:7], v[54:55]
	;; [unrolled: 1-line block ×3, first 2 shown]
	v_add_f64 v[4:5], v[56:57], -v[58:59]
	v_fma_f64 v[56:57], v[60:61], s[0:1], v[0:1]
	v_fma_f64 v[60:61], v[60:61], s[2:3], v[0:1]
	;; [unrolled: 1-line block ×4, first 2 shown]
	ds_read_b128 v[0:3], v112 offset:4032
	ds_read_b128 v[4:7], v112 offset:5040
	s_waitcnt lgkmcnt(1)
	v_fma_f64 v[88:89], v[88:89], -0.5, v[0:1]
	v_add_f64 v[0:1], v[0:1], v[84:85]
	v_fma_f64 v[90:91], v[90:91], -0.5, v[2:3]
	v_add_f64 v[2:3], v[2:3], v[80:81]
	v_add_f64 v[80:81], v[0:1], v[86:87]
	v_add_f64 v[0:1], v[84:85], -v[86:87]
	v_add_f64 v[82:83], v[2:3], v[82:83]
	v_add_f64 v[2:3], v[92:93], v[94:95]
	v_fma_f64 v[84:85], v[97:98], s[0:1], v[88:89]
	v_fma_f64 v[88:89], v[97:98], s[2:3], v[88:89]
	;; [unrolled: 1-line block ×4, first 2 shown]
	v_add_f64 v[0:1], v[99:100], v[101:102]
	s_waitcnt lgkmcnt(0)
	v_fma_f64 v[2:3], v[2:3], -0.5, v[6:7]
	v_add_f64 v[6:7], v[6:7], v[92:93]
	v_fma_f64 v[0:1], v[0:1], -0.5, v[4:5]
	v_add_f64 v[4:5], v[4:5], v[99:100]
	v_add_f64 v[94:95], v[6:7], v[94:95]
	v_fma_f64 v[97:98], v[184:185], s[0:1], v[0:1]
	v_add_f64 v[92:93], v[4:5], v[101:102]
	v_add_f64 v[4:5], v[99:100], -v[101:102]
	v_add_f64 v[101:102], v[180:181], v[192:193]
	v_fma_f64 v[184:185], v[184:185], s[2:3], v[0:1]
	v_fma_f64 v[99:100], v[4:5], s[2:3], v[2:3]
	;; [unrolled: 1-line block ×3, first 2 shown]
	ds_read_b128 v[0:3], v112 offset:6048
	ds_read_b128 v[4:7], v112 offset:7056
	s_waitcnt lgkmcnt(0)
	s_waitcnt_vscnt null, 0x0
	s_barrier
	buffer_gl0_inv
	ds_write_b128 v112, v[16:19]
	ds_write_b128 v112, v[20:23] offset:1152
	ds_write_b128 v112, v[24:27] offset:2304
	v_cndmask_b32_e64 v16, 0, 0xd8, vcc_lo
	v_cmp_gt_u16_e32 vcc_lo, 27, v96
	v_add_lshl_u32 v8, v8, v16, 4
	ds_write_b128 v8, v[28:31]
	ds_write_b128 v8, v[32:35] offset:1152
	buffer_store_dword v8, off, s[28:31], 0 offset:392 ; 4-byte Folded Spill
	ds_write_b128 v8, v[36:39] offset:2304
	v_mov_b32_e32 v8, 0xd8
	v_fma_f64 v[101:102], v[101:102], -0.5, v[0:1]
	v_fma_f64 v[198:199], v[190:191], -0.5, v[2:3]
	v_add_f64 v[2:3], v[2:3], v[182:183]
	v_add_f64 v[0:1], v[0:1], v[180:181]
	v_add_f64 v[182:183], v[182:183], -v[188:189]
	v_mul_u32_u24_sdwa v9, v9, v8 dst_sel:DWORD dst_unused:UNUSED_PAD src0_sel:WORD_0 src1_sel:DWORD
	v_mul_u32_u24_sdwa v8, v12, v8 dst_sel:DWORD dst_unused:UNUSED_PAD src0_sel:WORD_0 src1_sel:DWORD
	v_add_lshl_u32 v9, v9, v11, 4
	v_add_lshl_u32 v8, v8, v13, 4
	ds_write_b128 v9, v[40:43]
	ds_write_b128 v9, v[44:47] offset:1152
	buffer_store_dword v9, off, s[28:31], 0 offset:396 ; 4-byte Folded Spill
	ds_write_b128 v9, v[48:51] offset:2304
	ds_write_b128 v8, v[52:55]
	ds_write_b128 v8, v[56:59] offset:1152
	buffer_store_dword v8, off, s[28:31], 0 offset:400 ; 4-byte Folded Spill
	ds_write_b128 v8, v[60:63] offset:2304
	v_mad_u16 v8, 0xd8, v14, v15
	v_add_f64 v[190:191], v[2:3], v[188:189]
	v_add_f64 v[188:189], v[0:1], v[192:193]
	v_add_f64 v[0:1], v[180:181], -v[192:193]
	v_fma_f64 v[192:193], v[182:183], s[0:1], v[101:102]
	v_fma_f64 v[196:197], v[182:183], s[2:3], v[101:102]
	v_lshlrev_b32_sdwa v8, v10, v8 dst_sel:DWORD dst_unused:UNUSED_PAD src0_sel:DWORD src1_sel:WORD_0
	ds_write_b128 v8, v[80:83]
	ds_write_b128 v8, v[84:87] offset:1152
	buffer_store_dword v8, off, s[28:31], 0 offset:404 ; 4-byte Folded Spill
	ds_write_b128 v8, v[88:91] offset:2304
	v_mad_u16 v8, 0xd8, v103, v208
	v_lshlrev_b32_sdwa v8, v10, v8 dst_sel:DWORD dst_unused:UNUSED_PAD src0_sel:DWORD src1_sel:WORD_0
	ds_write_b128 v8, v[92:95]
	ds_write_b128 v8, v[97:100] offset:1152
	v_fma_f64 v[194:195], v[0:1], s[2:3], v[198:199]
	v_fma_f64 v[198:199], v[0:1], s[0:1], v[198:199]
	v_add_f64 v[0:1], v[200:201], v[204:205]
	buffer_store_dword v8, off, s[28:31], 0 offset:408 ; 4-byte Folded Spill
	ds_write_b128 v8, v[184:187] offset:2304
	v_mad_u16 v8, 0xd8, v209, v210
                                        ; implicit-def: $vgpr184_vgpr185
	v_lshlrev_b32_sdwa v8, v10, v8 dst_sel:DWORD dst_unused:UNUSED_PAD src0_sel:DWORD src1_sel:WORD_0
	v_lshlrev_b32_sdwa v10, v10, v211 dst_sel:DWORD dst_unused:UNUSED_PAD src0_sel:DWORD src1_sel:WORD_0
	ds_write_b128 v8, v[188:191]
	ds_write_b128 v8, v[192:195] offset:1152
	buffer_store_dword v8, off, s[28:31], 0 offset:428 ; 4-byte Folded Spill
	ds_write_b128 v8, v[196:199] offset:2304
	v_fma_f64 v[2:3], v[0:1], -0.5, v[4:5]
	v_add_f64 v[0:1], v[202:203], v[206:207]
	v_add_f64 v[4:5], v[4:5], v[200:201]
	v_add_f64 v[200:201], v[200:201], -v[204:205]
                                        ; implicit-def: $vgpr196_vgpr197
	v_fma_f64 v[101:102], v[0:1], -0.5, v[6:7]
	v_add_f64 v[0:1], v[6:7], v[202:203]
	v_add_f64 v[6:7], v[202:203], -v[206:207]
	v_add_f64 v[180:181], v[4:5], v[204:205]
                                        ; implicit-def: $vgpr204_vgpr205
	v_add_f64 v[182:183], v[0:1], v[206:207]
	v_fma_f64 v[0:1], v[6:7], s[0:1], v[2:3]
	v_fma_f64 v[4:5], v[6:7], s[2:3], v[2:3]
	;; [unrolled: 1-line block ×4, first 2 shown]
	ds_write_b128 v10, v[180:183] offset:20736
	ds_write_b128 v10, v[0:3] offset:21888
	buffer_store_dword v10, off, s[28:31], 0 offset:496 ; 4-byte Folded Spill
	ds_write_b128 v10, v[4:7] offset:23040
	s_waitcnt lgkmcnt(0)
	s_waitcnt_vscnt null, 0x0
	s_barrier
	buffer_gl0_inv
	ds_read_b128 v[8:11], v112
	ds_read_b128 v[192:195], v112 offset:1008
	ds_read_b128 v[24:27], v112 offset:6912
	;; [unrolled: 1-line block ×20, first 2 shown]
	s_load_dwordx2 s[2:3], s[4:5], 0x38
                                        ; implicit-def: $vgpr200_vgpr201
	s_and_saveexec_b32 s0, vcc_lo
	s_cbranch_execz .LBB0_3
; %bb.2:
	ds_read_b128 v[180:183], v112 offset:3024
	ds_read_b128 v[0:3], v112 offset:6480
	;; [unrolled: 1-line block ×7, first 2 shown]
.LBB0_3:
	s_or_b32 exec_lo, exec_lo, s0
	v_mad_u64_u32 v[36:37], null, 0x60, v113, s[14:15]
	s_mov_b32 s22, 0x37e14327
	s_mov_b32 s6, 0x36b3c0b5
	;; [unrolled: 1-line block ×6, first 2 shown]
	v_add_co_u32 v38, s0, 0xd60, v36
	v_add_co_ci_u32_e64 v39, s0, 0, v37, s0
	v_add_co_u32 v40, s0, 0x800, v36
	v_add_co_ci_u32_e64 v41, s0, 0, v37, s0
	s_mov_b32 s24, 0xaaaaaaaa
	s_mov_b32 s18, 0x5476071b
	s_clause 0x3
	global_load_dwordx4 v[54:57], v[40:41], off offset:1376
	global_load_dwordx4 v[42:45], v[38:39], off offset:48
	;; [unrolled: 1-line block ×4, first 2 shown]
	s_mov_b32 s20, 0xb247c609
	s_mov_b32 s25, 0xbff2aaaa
	;; [unrolled: 1-line block ×8, first 2 shown]
	s_waitcnt vmcnt(3) lgkmcnt(0)
	v_mul_f64 v[38:39], v[34:35], v[56:57]
	v_fma_f64 v[80:81], v[32:33], v[54:55], -v[38:39]
	v_mul_f64 v[32:33], v[32:33], v[56:57]
	buffer_store_dword v54, off, s[28:31], 0 offset:464 ; 4-byte Folded Spill
	buffer_store_dword v55, off, s[28:31], 0 offset:468 ; 4-byte Folded Spill
	;; [unrolled: 1-line block ×4, first 2 shown]
	v_fma_f64 v[86:87], v[34:35], v[54:55], v[32:33]
	s_waitcnt vmcnt(0)
	v_mul_f64 v[32:33], v[26:27], v[52:53]
	v_fma_f64 v[82:83], v[24:25], v[50:51], -v[32:33]
	v_mul_f64 v[24:25], v[24:25], v[52:53]
	buffer_store_dword v50, off, s[28:31], 0 offset:448 ; 4-byte Folded Spill
	buffer_store_dword v51, off, s[28:31], 0 offset:452 ; 4-byte Folded Spill
	buffer_store_dword v52, off, s[28:31], 0 offset:456 ; 4-byte Folded Spill
	buffer_store_dword v53, off, s[28:31], 0 offset:460 ; 4-byte Folded Spill
	v_fma_f64 v[88:89], v[26:27], v[50:51], v[24:25]
	v_mul_f64 v[24:25], v[30:31], v[48:49]
	v_fma_f64 v[84:85], v[28:29], v[46:47], -v[24:25]
	v_mul_f64 v[24:25], v[28:29], v[48:49]
	buffer_store_dword v46, off, s[28:31], 0 offset:432 ; 4-byte Folded Spill
	buffer_store_dword v47, off, s[28:31], 0 offset:436 ; 4-byte Folded Spill
	buffer_store_dword v48, off, s[28:31], 0 offset:440 ; 4-byte Folded Spill
	buffer_store_dword v49, off, s[28:31], 0 offset:444 ; 4-byte Folded Spill
	v_fma_f64 v[90:91], v[30:31], v[46:47], v[24:25]
	;; [unrolled: 8-line block ×3, first 2 shown]
	v_add_co_u32 v20, s0, 0xda0, v36
	v_add_co_ci_u32_e64 v21, s0, 0, v37, s0
	s_clause 0x1
	global_load_dwordx4 v[26:29], v[40:41], off offset:1440
	global_load_dwordx4 v[22:25], v[20:21], off offset:16
	s_waitcnt vmcnt(1)
	v_mul_f64 v[20:21], v[18:19], v[28:29]
	v_fma_f64 v[96:97], v[16:17], v[26:27], -v[20:21]
	v_mul_f64 v[16:17], v[16:17], v[28:29]
	buffer_store_dword v26, off, s[28:31], 0 offset:692 ; 4-byte Folded Spill
	buffer_store_dword v27, off, s[28:31], 0 offset:696 ; 4-byte Folded Spill
	;; [unrolled: 1-line block ×4, first 2 shown]
	v_fma_f64 v[98:99], v[18:19], v[26:27], v[16:17]
	s_waitcnt vmcnt(0)
	v_mul_f64 v[16:17], v[14:15], v[24:25]
	v_fma_f64 v[100:101], v[12:13], v[22:23], -v[16:17]
	v_mul_f64 v[12:13], v[12:13], v[24:25]
	buffer_store_dword v22, off, s[28:31], 0 offset:480 ; 4-byte Folded Spill
	buffer_store_dword v23, off, s[28:31], 0 offset:484 ; 4-byte Folded Spill
	;; [unrolled: 1-line block ×4, first 2 shown]
	v_fma_f64 v[102:103], v[14:15], v[22:23], v[12:13]
	v_add_co_u32 v12, s0, 0x2500, v36
	v_add_co_ci_u32_e64 v13, s0, 0, v37, s0
	v_add_co_u32 v14, s0, 0x2000, v36
	v_add_co_ci_u32_e64 v15, s0, 0, v37, s0
	s_clause 0x3
	global_load_dwordx4 v[28:31], v[14:15], off offset:1280
	global_load_dwordx4 v[16:19], v[12:13], off offset:48
	;; [unrolled: 1-line block ×4, first 2 shown]
	s_waitcnt vmcnt(3)
	v_mul_f64 v[12:13], v[254:255], v[30:31]
	v_fma_f64 v[60:61], v[252:253], v[28:29], -v[12:13]
	v_mul_f64 v[12:13], v[252:253], v[30:31]
	buffer_store_dword v28, off, s[28:31], 0 offset:580 ; 4-byte Folded Spill
	buffer_store_dword v29, off, s[28:31], 0 offset:584 ; 4-byte Folded Spill
	;; [unrolled: 1-line block ×4, first 2 shown]
	v_fma_f64 v[252:253], v[254:255], v[28:29], v[12:13]
	s_waitcnt vmcnt(0)
	v_mul_f64 v[12:13], v[246:247], v[26:27]
	v_fma_f64 v[62:63], v[244:245], v[24:25], -v[12:13]
	v_mul_f64 v[12:13], v[244:245], v[26:27]
	buffer_store_dword v24, off, s[28:31], 0 offset:548 ; 4-byte Folded Spill
	buffer_store_dword v25, off, s[28:31], 0 offset:552 ; 4-byte Folded Spill
	buffer_store_dword v26, off, s[28:31], 0 offset:556 ; 4-byte Folded Spill
	buffer_store_dword v27, off, s[28:31], 0 offset:560 ; 4-byte Folded Spill
	v_fma_f64 v[246:247], v[246:247], v[24:25], v[12:13]
	v_mul_f64 v[12:13], v[250:251], v[22:23]
	v_fma_f64 v[244:245], v[248:249], v[20:21], -v[12:13]
	v_mul_f64 v[12:13], v[248:249], v[22:23]
	buffer_store_dword v20, off, s[28:31], 0 offset:516 ; 4-byte Folded Spill
	buffer_store_dword v21, off, s[28:31], 0 offset:520 ; 4-byte Folded Spill
	buffer_store_dword v22, off, s[28:31], 0 offset:524 ; 4-byte Folded Spill
	buffer_store_dword v23, off, s[28:31], 0 offset:528 ; 4-byte Folded Spill
	v_fma_f64 v[248:249], v[250:251], v[20:21], v[12:13]
	v_mul_f64 v[12:13], v[242:243], v[18:19]
	v_fma_f64 v[250:251], v[240:241], v[16:17], -v[12:13]
	v_mul_f64 v[12:13], v[240:241], v[18:19]
	buffer_store_dword v16, off, s[28:31], 0 offset:500 ; 4-byte Folded Spill
	buffer_store_dword v17, off, s[28:31], 0 offset:504 ; 4-byte Folded Spill
	buffer_store_dword v18, off, s[28:31], 0 offset:508 ; 4-byte Folded Spill
	buffer_store_dword v19, off, s[28:31], 0 offset:512 ; 4-byte Folded Spill
	v_fma_f64 v[240:241], v[242:243], v[16:17], v[12:13]
	v_add_co_u32 v12, s0, 0x2540, v36
	v_add_co_ci_u32_e64 v13, s0, 0, v37, s0
	s_clause 0x1
	global_load_dwordx4 v[18:21], v[14:15], off offset:1344
	global_load_dwordx4 v[14:17], v[12:13], off offset:16
	s_waitcnt vmcnt(1)
	v_mul_f64 v[12:13], v[238:239], v[20:21]
	v_fma_f64 v[242:243], v[236:237], v[18:19], -v[12:13]
	v_mul_f64 v[12:13], v[236:237], v[20:21]
	buffer_store_dword v18, off, s[28:31], 0 offset:676 ; 4-byte Folded Spill
	buffer_store_dword v19, off, s[28:31], 0 offset:680 ; 4-byte Folded Spill
	;; [unrolled: 1-line block ×4, first 2 shown]
	v_fma_f64 v[236:237], v[238:239], v[18:19], v[12:13]
	s_waitcnt vmcnt(0)
	v_mul_f64 v[12:13], v[234:235], v[16:17]
	v_fma_f64 v[238:239], v[232:233], v[14:15], -v[12:13]
	v_mul_f64 v[12:13], v[232:233], v[16:17]
	buffer_store_dword v14, off, s[28:31], 0 offset:596 ; 4-byte Folded Spill
	buffer_store_dword v15, off, s[28:31], 0 offset:600 ; 4-byte Folded Spill
	;; [unrolled: 1-line block ×4, first 2 shown]
	v_fma_f64 v[232:233], v[234:235], v[14:15], v[12:13]
	v_add_co_u32 v12, s0, 0x3ca0, v36
	v_add_co_ci_u32_e64 v13, s0, 0, v37, s0
	v_add_co_u32 v28, s0, 0x3800, v36
	v_add_co_ci_u32_e64 v29, s0, 0, v37, s0
	s_clause 0x3
	global_load_dwordx4 v[16:19], v[28:29], off offset:1184
	global_load_dwordx4 v[30:33], v[12:13], off offset:48
	;; [unrolled: 1-line block ×4, first 2 shown]
	s_waitcnt vmcnt(3)
	v_mul_f64 v[12:13], v[230:231], v[18:19]
	v_mul_f64 v[14:15], v[228:229], v[18:19]
	v_fma_f64 v[12:13], v[228:229], v[16:17], -v[12:13]
	buffer_store_dword v16, off, s[28:31], 0 offset:628 ; 4-byte Folded Spill
	buffer_store_dword v17, off, s[28:31], 0 offset:632 ; 4-byte Folded Spill
	;; [unrolled: 1-line block ×4, first 2 shown]
	v_fma_f64 v[18:19], v[230:231], v[16:17], v[14:15]
	s_waitcnt vmcnt(0)
	v_mul_f64 v[14:15], v[226:227], v[22:23]
	v_mul_f64 v[16:17], v[224:225], v[22:23]
	v_fma_f64 v[14:15], v[224:225], v[20:21], -v[14:15]
	buffer_store_dword v20, off, s[28:31], 0 offset:612 ; 4-byte Folded Spill
	buffer_store_dword v21, off, s[28:31], 0 offset:616 ; 4-byte Folded Spill
	;; [unrolled: 1-line block ×4, first 2 shown]
	v_mul_f64 v[22:23], v[220:221], v[26:27]
	v_fma_f64 v[20:21], v[226:227], v[20:21], v[16:17]
	v_mul_f64 v[16:17], v[222:223], v[26:27]
	v_fma_f64 v[16:17], v[220:221], v[24:25], -v[16:17]
	buffer_store_dword v24, off, s[28:31], 0 offset:564 ; 4-byte Folded Spill
	buffer_store_dword v25, off, s[28:31], 0 offset:568 ; 4-byte Folded Spill
	;; [unrolled: 1-line block ×4, first 2 shown]
	v_mul_f64 v[26:27], v[216:217], v[32:33]
	v_fma_f64 v[22:23], v[222:223], v[24:25], v[22:23]
	v_mul_f64 v[24:25], v[218:219], v[32:33]
	v_fma_f64 v[24:25], v[216:217], v[30:31], -v[24:25]
	buffer_store_dword v30, off, s[28:31], 0 offset:532 ; 4-byte Folded Spill
	buffer_store_dword v31, off, s[28:31], 0 offset:536 ; 4-byte Folded Spill
	;; [unrolled: 1-line block ×4, first 2 shown]
	v_fma_f64 v[26:27], v[218:219], v[30:31], v[26:27]
	v_add_co_u32 v30, s0, 0x3ce0, v36
	v_add_co_ci_u32_e64 v31, s0, 0, v37, s0
	s_clause 0x1
	global_load_dwordx4 v[32:35], v[28:29], off offset:1248
	global_load_dwordx4 v[36:39], v[30:31], off offset:16
	s_waitcnt vmcnt(1)
	v_mul_f64 v[28:29], v[214:215], v[34:35]
	v_mul_f64 v[30:31], v[212:213], v[34:35]
	v_fma_f64 v[28:29], v[212:213], v[32:33], -v[28:29]
	buffer_store_dword v32, off, s[28:31], 0 offset:660 ; 4-byte Folded Spill
	buffer_store_dword v33, off, s[28:31], 0 offset:664 ; 4-byte Folded Spill
	;; [unrolled: 1-line block ×4, first 2 shown]
	s_waitcnt vmcnt(0)
	v_mul_f64 v[34:35], v[208:209], v[38:39]
	v_fma_f64 v[30:31], v[214:215], v[32:33], v[30:31]
	v_mul_f64 v[32:33], v[210:211], v[38:39]
	v_fma_f64 v[32:33], v[208:209], v[36:37], -v[32:33]
	buffer_store_dword v36, off, s[28:31], 0 offset:644 ; 4-byte Folded Spill
	buffer_store_dword v37, off, s[28:31], 0 offset:648 ; 4-byte Folded Spill
	;; [unrolled: 1-line block ×4, first 2 shown]
	v_fma_f64 v[34:35], v[210:211], v[36:37], v[34:35]
	v_subrev_nc_u32_e32 v36, 27, v113
	v_cndmask_b32_e32 v36, v36, v114, vcc_lo
	v_mul_hi_i32_i24_e32 v37, 0x60, v36
	v_mul_i32_i24_e32 v36, 0x60, v36
	v_add_co_u32 v54, s0, s14, v36
	v_add_co_ci_u32_e64 v55, s0, s15, v37, s0
	s_mov_b32 s15, 0xbfe77f67
	v_add_co_u32 v36, s0, 0xd60, v54
	v_add_co_ci_u32_e64 v37, s0, 0, v55, s0
	v_add_co_u32 v52, s0, 0x800, v54
	v_add_co_ci_u32_e64 v53, s0, 0, v55, s0
	s_clause 0x3
	global_load_dwordx4 v[38:41], v[52:53], off offset:1376
	global_load_dwordx4 v[56:59], v[36:37], off offset:48
	;; [unrolled: 1-line block ×4, first 2 shown]
	s_mov_b32 s14, s18
	s_waitcnt vmcnt(3)
	v_mul_f64 v[36:37], v[2:3], v[40:41]
	v_fma_f64 v[48:49], v[0:1], v[38:39], -v[36:37]
	v_mul_f64 v[0:1], v[0:1], v[40:41]
	buffer_store_dword v38, off, s[28:31], 0 offset:1632 ; 4-byte Folded Spill
	buffer_store_dword v39, off, s[28:31], 0 offset:1636 ; 4-byte Folded Spill
	;; [unrolled: 1-line block ×4, first 2 shown]
	v_fma_f64 v[50:51], v[2:3], v[38:39], v[0:1]
	s_waitcnt vmcnt(0)
	v_mul_f64 v[0:1], v[6:7], v[210:211]
	v_fma_f64 v[36:37], v[4:5], v[208:209], -v[0:1]
	v_mul_f64 v[0:1], v[4:5], v[210:211]
	buffer_store_dword v208, off, s[28:31], 0 offset:1648 ; 4-byte Folded Spill
	buffer_store_dword v209, off, s[28:31], 0 offset:1652 ; 4-byte Folded Spill
	;; [unrolled: 1-line block ×4, first 2 shown]
	v_fma_f64 v[40:41], v[6:7], v[208:209], v[0:1]
	v_mul_f64 v[0:1], v[202:203], v[44:45]
	v_add_f64 v[6:7], v[86:87], -v[102:103]
	v_fma_f64 v[38:39], v[200:201], v[42:43], -v[0:1]
	v_mul_f64 v[0:1], v[200:201], v[44:45]
	buffer_store_dword v42, off, s[28:31], 0 offset:1616 ; 4-byte Folded Spill
	buffer_store_dword v43, off, s[28:31], 0 offset:1620 ; 4-byte Folded Spill
	;; [unrolled: 1-line block ×4, first 2 shown]
	v_fma_f64 v[42:43], v[202:203], v[42:43], v[0:1]
	v_mul_f64 v[0:1], v[206:207], v[58:59]
	v_fma_f64 v[44:45], v[204:205], v[56:57], -v[0:1]
	v_mul_f64 v[0:1], v[204:205], v[58:59]
	buffer_store_dword v56, off, s[28:31], 0 offset:1600 ; 4-byte Folded Spill
	buffer_store_dword v57, off, s[28:31], 0 offset:1604 ; 4-byte Folded Spill
	;; [unrolled: 1-line block ×4, first 2 shown]
	v_fma_f64 v[46:47], v[206:207], v[56:57], v[0:1]
	v_add_co_u32 v0, s0, 0xda0, v54
	v_add_co_ci_u32_e64 v1, s0, 0, v55, s0
	s_clause 0x1
	global_load_dwordx4 v[2:5], v[52:53], off offset:1440
	global_load_dwordx4 v[200:203], v[0:1], off offset:16
	s_mov_b32 s0, 0x429ad128
	s_mov_b32 s1, 0x3febfeb5
	s_waitcnt vmcnt(1)
	v_mul_f64 v[0:1], v[186:187], v[4:5]
	v_fma_f64 v[52:53], v[184:185], v[2:3], -v[0:1]
	v_mul_f64 v[0:1], v[184:185], v[4:5]
	buffer_store_dword v2, off, s[28:31], 0 offset:1664 ; 4-byte Folded Spill
	buffer_store_dword v3, off, s[28:31], 0 offset:1668 ; 4-byte Folded Spill
	;; [unrolled: 1-line block ×4, first 2 shown]
	v_add_f64 v[4:5], v[80:81], -v[100:101]
	v_fma_f64 v[54:55], v[186:187], v[2:3], v[0:1]
	s_waitcnt vmcnt(0)
	v_mul_f64 v[0:1], v[198:199], v[202:203]
	v_add_f64 v[2:3], v[86:87], v[102:103]
	v_add_f64 v[86:87], v[88:89], v[98:99]
	v_add_f64 v[88:89], v[88:89], -v[98:99]
	v_add_f64 v[98:99], v[90:91], v[94:95]
	v_add_f64 v[90:91], v[94:95], -v[90:91]
	v_fma_f64 v[56:57], v[196:197], v[200:201], -v[0:1]
	v_mul_f64 v[0:1], v[196:197], v[202:203]
	buffer_store_dword v200, off, s[28:31], 0 offset:1680 ; 4-byte Folded Spill
	buffer_store_dword v201, off, s[28:31], 0 offset:1684 ; 4-byte Folded Spill
	;; [unrolled: 1-line block ×4, first 2 shown]
	v_add_f64 v[94:95], v[86:87], v[2:3]
	v_add_f64 v[102:103], v[86:87], -v[2:3]
	v_add_f64 v[2:3], v[2:3], -v[98:99]
	;; [unrolled: 1-line block ×3, first 2 shown]
	v_add_f64 v[186:187], v[90:91], v[88:89]
	v_add_f64 v[94:95], v[98:99], v[94:95]
	v_mul_f64 v[2:3], v[2:3], s[22:23]
	v_fma_f64 v[58:59], v[198:199], v[200:201], v[0:1]
	v_add_f64 v[0:1], v[80:81], v[100:101]
	v_add_f64 v[80:81], v[82:83], v[96:97]
	v_add_f64 v[82:83], v[82:83], -v[96:97]
	v_add_f64 v[96:97], v[84:85], v[92:93]
	v_add_f64 v[84:85], v[92:93], -v[84:85]
	v_add_f64 v[198:199], v[90:91], -v[88:89]
	;; [unrolled: 1-line block ×4, first 2 shown]
	v_add_f64 v[6:7], v[186:187], v[6:7]
	v_add_f64 v[186:187], v[10:11], v[94:95]
	v_mul_f64 v[10:11], v[86:87], s[6:7]
	v_fma_f64 v[86:87], v[86:87], s[6:7], v[2:3]
	v_fma_f64 v[2:3], v[102:103], s[14:15], -v[2:3]
	v_add_f64 v[92:93], v[80:81], v[0:1]
	v_add_f64 v[100:101], v[80:81], -v[0:1]
	v_add_f64 v[0:1], v[0:1], -v[96:97]
	;; [unrolled: 1-line block ×3, first 2 shown]
	v_add_f64 v[184:185], v[84:85], v[82:83]
	v_add_f64 v[196:197], v[84:85], -v[82:83]
	v_add_f64 v[82:83], v[82:83], -v[4:5]
	;; [unrolled: 1-line block ×3, first 2 shown]
	v_mul_f64 v[98:99], v[198:199], s[26:27]
	v_mul_f64 v[198:199], v[88:89], s[0:1]
	v_fma_f64 v[94:95], v[94:95], s[24:25], v[186:187]
	v_fma_f64 v[10:11], v[102:103], s[18:19], -v[10:11]
	v_add_f64 v[92:93], v[96:97], v[92:93]
	v_mul_f64 v[0:1], v[0:1], s[22:23]
	v_add_f64 v[4:5], v[184:185], v[4:5]
	v_mul_f64 v[96:97], v[196:197], s[26:27]
	v_mul_f64 v[196:197], v[82:83], s[0:1]
	v_fma_f64 v[102:103], v[90:91], s[20:21], v[98:99]
	v_fma_f64 v[88:89], v[88:89], s[0:1], -v[98:99]
	v_fma_f64 v[90:91], v[90:91], s[16:17], -v[198:199]
	v_add_f64 v[86:87], v[86:87], v[94:95]
	v_add_f64 v[10:11], v[10:11], v[94:95]
	;; [unrolled: 1-line block ×4, first 2 shown]
	v_mul_f64 v[8:9], v[80:81], s[6:7]
	v_fma_f64 v[80:81], v[80:81], s[6:7], v[0:1]
	v_fma_f64 v[0:1], v[100:101], s[14:15], -v[0:1]
	v_fma_f64 v[82:83], v[82:83], s[0:1], -v[96:97]
	v_fma_f64 v[94:95], v[6:7], s[4:5], v[102:103]
	v_fma_f64 v[88:89], v[6:7], s[4:5], v[88:89]
	;; [unrolled: 1-line block ×4, first 2 shown]
	v_fma_f64 v[8:9], v[100:101], s[18:19], -v[8:9]
	v_fma_f64 v[100:101], v[84:85], s[20:21], v[96:97]
	v_fma_f64 v[84:85], v[84:85], s[16:17], -v[196:197]
	v_fma_f64 v[82:83], v[4:5], s[4:5], v[82:83]
	v_add_f64 v[80:81], v[80:81], v[92:93]
	v_add_f64 v[8:9], v[8:9], v[92:93]
	;; [unrolled: 1-line block ×3, first 2 shown]
	v_fma_f64 v[92:93], v[4:5], s[4:5], v[100:101]
	v_fma_f64 v[4:5], v[4:5], s[4:5], v[84:85]
	v_add_f64 v[206:207], v[82:83], v[10:11]
	v_add_f64 v[210:211], v[10:11], -v[82:83]
	v_add_f64 v[10:11], v[246:247], v[236:237]
	v_add_f64 v[82:83], v[248:249], v[240:241]
	v_add_f64 v[84:85], v[250:251], -v[244:245]
	v_add_f64 v[196:197], v[94:95], v[80:81]
	v_add_f64 v[204:205], v[8:9], -v[88:89]
	v_add_f64 v[200:201], v[6:7], v[0:1]
	v_add_f64 v[208:209], v[88:89], v[8:9]
	v_add_f64 v[202:203], v[2:3], -v[4:5]
	v_add_f64 v[212:213], v[0:1], -v[6:7]
	v_add_f64 v[214:215], v[4:5], v[2:3]
	v_add_f64 v[0:1], v[60:61], v[238:239]
	;; [unrolled: 1-line block ×4, first 2 shown]
	v_add_f64 v[198:199], v[86:87], -v[92:93]
	v_add_f64 v[216:217], v[80:81], -v[94:95]
	v_add_f64 v[218:219], v[92:93], v[86:87]
	v_add_f64 v[4:5], v[60:61], -v[238:239]
	v_add_f64 v[6:7], v[252:253], -v[232:233]
	;; [unrolled: 1-line block ×4, first 2 shown]
	v_add_f64 v[80:81], v[244:245], v[250:251]
	v_add_f64 v[86:87], v[240:241], -v[248:249]
	ds_write_b128 v112, v[184:187]
	ds_write_b128 v112, v[196:199] offset:3456
	ds_write_b128 v112, v[200:203] offset:6912
	;; [unrolled: 1-line block ×5, first 2 shown]
	v_add_f64 v[88:89], v[8:9], v[0:1]
	v_add_f64 v[90:91], v[10:11], v[2:3]
	v_add_f64 v[92:93], v[8:9], -v[0:1]
	v_add_f64 v[94:95], v[10:11], -v[2:3]
	;; [unrolled: 1-line block ×4, first 2 shown]
	v_add_f64 v[96:97], v[84:85], v[60:61]
	v_add_f64 v[0:1], v[0:1], -v[80:81]
	v_add_f64 v[8:9], v[80:81], -v[8:9]
	v_add_f64 v[98:99], v[86:87], v[62:63]
	v_add_f64 v[100:101], v[84:85], -v[60:61]
	v_add_f64 v[102:103], v[86:87], -v[62:63]
	v_add_f64 v[60:61], v[60:61], -v[4:5]
	v_add_f64 v[62:63], v[62:63], -v[6:7]
	v_add_f64 v[84:85], v[4:5], -v[84:85]
	v_add_f64 v[86:87], v[6:7], -v[86:87]
	ds_write_b128 v112, v[216:219] offset:20736
	v_add_f64 v[80:81], v[80:81], v[88:89]
	v_add_f64 v[82:83], v[82:83], v[90:91]
	v_mul_f64 v[2:3], v[2:3], s[22:23]
	v_mul_f64 v[90:91], v[10:11], s[6:7]
	v_add_f64 v[4:5], v[96:97], v[4:5]
	v_mul_f64 v[0:1], v[0:1], s[22:23]
	v_mul_f64 v[88:89], v[8:9], s[6:7]
	;; [unrolled: 3-line block ×3, first 2 shown]
	v_mul_f64 v[100:101], v[60:61], s[0:1]
	v_mul_f64 v[102:103], v[62:63], s[0:1]
	v_add_f64 v[220:221], v[192:193], v[80:81]
	v_add_f64 v[222:223], v[194:195], v[82:83]
	v_fma_f64 v[10:11], v[10:11], s[6:7], v[2:3]
	v_fma_f64 v[90:91], v[94:95], s[18:19], -v[90:91]
	v_fma_f64 v[2:3], v[94:95], s[14:15], -v[2:3]
	v_fma_f64 v[8:9], v[8:9], s[6:7], v[0:1]
	v_fma_f64 v[88:89], v[92:93], s[18:19], -v[88:89]
	v_fma_f64 v[0:1], v[92:93], s[14:15], -v[0:1]
	v_fma_f64 v[92:93], v[84:85], s[20:21], v[96:97]
	v_fma_f64 v[94:95], v[86:87], s[20:21], v[98:99]
	v_fma_f64 v[60:61], v[60:61], s[0:1], -v[96:97]
	v_fma_f64 v[62:63], v[62:63], s[0:1], -v[98:99]
	;; [unrolled: 1-line block ×4, first 2 shown]
	v_fma_f64 v[80:81], v[80:81], s[24:25], v[220:221]
	v_fma_f64 v[82:83], v[82:83], s[24:25], v[222:223]
	ds_write_b128 v112, v[220:223] offset:1008
	v_fma_f64 v[60:61], v[4:5], s[4:5], v[60:61]
	v_fma_f64 v[62:63], v[6:7], s[4:5], v[62:63]
	v_add_f64 v[8:9], v[8:9], v[80:81]
	v_add_f64 v[10:11], v[10:11], v[82:83]
	;; [unrolled: 1-line block ×6, first 2 shown]
	v_fma_f64 v[80:81], v[4:5], s[4:5], v[92:93]
	v_fma_f64 v[82:83], v[6:7], s[4:5], v[94:95]
	;; [unrolled: 1-line block ×4, first 2 shown]
	v_add_f64 v[232:233], v[88:89], -v[62:63]
	v_add_f64 v[234:235], v[60:61], v[90:91]
	v_add_f64 v[228:229], v[62:63], v[88:89]
	v_add_f64 v[230:231], v[90:91], -v[60:61]
	v_add_f64 v[242:243], v[10:11], -v[80:81]
	v_add_f64 v[240:241], v[82:83], v[8:9]
	v_add_f64 v[238:239], v[2:3], -v[4:5]
	v_add_f64 v[236:237], v[6:7], v[0:1]
	;; [unrolled: 2-line block ×4, first 2 shown]
	v_add_f64 v[0:1], v[12:13], v[32:33]
	v_add_f64 v[2:3], v[18:19], v[34:35]
	;; [unrolled: 1-line block ×4, first 2 shown]
	v_add_f64 v[4:5], v[12:13], -v[32:33]
	v_add_f64 v[6:7], v[18:19], -v[34:35]
	;; [unrolled: 1-line block ×4, first 2 shown]
	v_add_f64 v[18:19], v[16:17], v[24:25]
	v_add_f64 v[20:21], v[22:23], v[26:27]
	v_add_f64 v[16:17], v[24:25], -v[16:17]
	v_add_f64 v[22:23], v[26:27], -v[22:23]
	ds_write_b128 v112, v[240:243] offset:4464
	ds_write_b128 v112, v[236:239] offset:7920
	;; [unrolled: 1-line block ×5, first 2 shown]
	v_add_f64 v[24:25], v[8:9], v[0:1]
	v_add_f64 v[26:27], v[10:11], v[2:3]
	v_add_f64 v[28:29], v[8:9], -v[0:1]
	v_add_f64 v[30:31], v[10:11], -v[2:3]
	;; [unrolled: 1-line block ×6, first 2 shown]
	v_add_f64 v[32:33], v[16:17], v[12:13]
	v_add_f64 v[34:35], v[22:23], v[14:15]
	v_add_f64 v[60:61], v[16:17], -v[12:13]
	v_add_f64 v[62:63], v[22:23], -v[14:15]
	;; [unrolled: 1-line block ×6, first 2 shown]
	v_add_f64 v[18:19], v[18:19], v[24:25]
	v_add_f64 v[20:21], v[20:21], v[26:27]
	v_mul_f64 v[0:1], v[0:1], s[22:23]
	v_mul_f64 v[2:3], v[2:3], s[22:23]
	;; [unrolled: 1-line block ×4, first 2 shown]
	v_add_f64 v[4:5], v[32:33], v[4:5]
	v_add_f64 v[6:7], v[34:35], v[6:7]
	v_mul_f64 v[32:33], v[60:61], s[26:27]
	v_mul_f64 v[34:35], v[62:63], s[26:27]
	;; [unrolled: 1-line block ×4, first 2 shown]
	v_add_f64 v[188:189], v[188:189], v[18:19]
	v_add_f64 v[190:191], v[190:191], v[20:21]
	v_fma_f64 v[8:9], v[8:9], s[6:7], v[0:1]
	v_fma_f64 v[10:11], v[10:11], s[6:7], v[2:3]
	v_fma_f64 v[24:25], v[28:29], s[18:19], -v[24:25]
	v_fma_f64 v[26:27], v[30:31], s[18:19], -v[26:27]
	;; [unrolled: 1-line block ×4, first 2 shown]
	v_fma_f64 v[28:29], v[16:17], s[20:21], v[32:33]
	v_fma_f64 v[30:31], v[22:23], s[20:21], v[34:35]
	v_fma_f64 v[12:13], v[12:13], s[0:1], -v[32:33]
	v_fma_f64 v[14:15], v[14:15], s[0:1], -v[34:35]
	;; [unrolled: 1-line block ×4, first 2 shown]
	v_fma_f64 v[18:19], v[18:19], s[24:25], v[188:189]
	v_fma_f64 v[20:21], v[20:21], s[24:25], v[190:191]
	;; [unrolled: 1-line block ×8, first 2 shown]
	v_add_f64 v[32:33], v[8:9], v[18:19]
	v_add_f64 v[34:35], v[10:11], v[20:21]
	;; [unrolled: 1-line block ×7, first 2 shown]
	v_add_f64 v[10:11], v[34:35], -v[28:29]
	v_add_f64 v[0:1], v[24:25], -v[14:15]
	v_add_f64 v[2:3], v[12:13], v[26:27]
	v_add_f64 v[4:5], v[22:23], v[18:19]
	v_add_f64 v[6:7], v[20:21], -v[16:17]
	v_add_f64 v[252:253], v[14:15], v[24:25]
	v_add_f64 v[254:255], v[26:27], -v[12:13]
	v_add_f64 v[248:249], v[18:19], -v[22:23]
	v_add_f64 v[250:251], v[16:17], v[20:21]
	v_add_f64 v[12:13], v[48:49], v[56:57]
	;; [unrolled: 1-line block ×5, first 2 shown]
	v_add_f64 v[244:245], v[32:33], -v[30:31]
	v_add_f64 v[246:247], v[28:29], v[34:35]
	v_add_f64 v[16:17], v[48:49], -v[56:57]
	v_add_f64 v[24:25], v[36:37], -v[52:53]
	;; [unrolled: 1-line block ×3, first 2 shown]
	v_add_f64 v[28:29], v[38:39], v[44:45]
	v_add_f64 v[30:31], v[42:43], v[46:47]
	v_add_f64 v[32:33], v[44:45], -v[38:39]
	v_add_f64 v[34:35], v[46:47], -v[42:43]
	v_add_f64 v[18:19], v[50:51], -v[58:59]
	ds_write_b128 v112, v[192:195] offset:21744
	ds_write_b128 v112, v[188:191] offset:2016
	;; [unrolled: 1-line block ×8, first 2 shown]
	v_add_f64 v[36:37], v[20:21], v[12:13]
	v_add_f64 v[38:39], v[22:23], v[14:15]
	v_add_f64 v[40:41], v[20:21], -v[12:13]
	v_add_f64 v[42:43], v[22:23], -v[14:15]
	;; [unrolled: 1-line block ×6, first 2 shown]
	v_add_f64 v[44:45], v[32:33], v[24:25]
	v_add_f64 v[46:47], v[34:35], v[26:27]
	v_add_f64 v[48:49], v[32:33], -v[24:25]
	v_add_f64 v[50:51], v[34:35], -v[26:27]
	;; [unrolled: 1-line block ×6, first 2 shown]
	v_add_f64 v[28:29], v[28:29], v[36:37]
	v_add_f64 v[30:31], v[30:31], v[38:39]
	v_mul_f64 v[12:13], v[12:13], s[22:23]
	v_mul_f64 v[14:15], v[14:15], s[22:23]
	v_add_f64 v[36:37], v[44:45], v[16:17]
	v_add_f64 v[38:39], v[46:47], v[18:19]
	v_mul_f64 v[16:17], v[20:21], s[6:7]
	v_mul_f64 v[18:19], v[22:23], s[6:7]
	;; [unrolled: 1-line block ×6, first 2 shown]
	v_add_f64 v[180:181], v[180:181], v[28:29]
	v_add_f64 v[182:183], v[182:183], v[30:31]
	v_fma_f64 v[20:21], v[20:21], s[6:7], v[12:13]
	v_fma_f64 v[22:23], v[22:23], s[6:7], v[14:15]
	v_fma_f64 v[52:53], v[40:41], s[18:19], -v[16:17]
	v_fma_f64 v[18:19], v[42:43], s[18:19], -v[18:19]
	;; [unrolled: 1-line block ×4, first 2 shown]
	v_fma_f64 v[54:55], v[32:33], s[20:21], v[44:45]
	v_fma_f64 v[24:25], v[24:25], s[0:1], -v[44:45]
	v_fma_f64 v[26:27], v[26:27], s[0:1], -v[46:47]
	;; [unrolled: 1-line block ×3, first 2 shown]
	v_fma_f64 v[56:57], v[34:35], s[20:21], v[46:47]
	v_fma_f64 v[28:29], v[28:29], s[24:25], v[180:181]
	;; [unrolled: 1-line block ×3, first 2 shown]
	v_fma_f64 v[34:35], v[34:35], s[16:17], -v[50:51]
	v_add_f64 v[12:13], v[20:21], v[28:29]
	v_add_f64 v[16:17], v[22:23], v[30:31]
	;; [unrolled: 1-line block ×6, first 2 shown]
	v_fma_f64 v[22:23], v[36:37], s[4:5], v[54:55]
	v_fma_f64 v[28:29], v[36:37], s[4:5], v[24:25]
	;; [unrolled: 1-line block ×6, first 2 shown]
	v_add_f64 v[42:43], v[22:23], v[16:17]
	v_add_f64 v[34:35], v[28:29], v[46:47]
	v_add_f64 v[32:33], v[44:45], -v[30:31]
	v_add_f64 v[36:37], v[30:31], v[44:45]
	v_add_f64 v[38:39], v[46:47], -v[28:29]
	;; [unrolled: 2-line block ×3, first 2 shown]
	v_add_f64 v[40:41], v[12:13], -v[20:21]
	v_mov_b32_e32 v227, v43
	v_mov_b32_e32 v215, v35
	;; [unrolled: 1-line block ×16, first 2 shown]
	s_and_saveexec_b32 s0, vcc_lo
	s_cbranch_execz .LBB0_5
; %bb.4:
	v_add_f64 v[6:7], v[16:17], -v[22:23]
	v_add_f64 v[4:5], v[20:21], v[12:13]
	v_add_f64 v[2:3], v[18:19], -v[26:27]
	v_add_f64 v[0:1], v[24:25], v[14:15]
	ds_write_b128 v112, v[180:183] offset:3024
	ds_write_b128 v112, v[212:215] offset:13392
	;; [unrolled: 1-line block ×7, first 2 shown]
.LBB0_5:
	s_or_b32 exec_lo, exec_lo, s0
	v_lshlrev_b32_e32 v0, 4, v113
	s_waitcnt lgkmcnt(0)
	s_waitcnt_vscnt null, 0x0
	s_barrier
	buffer_gl0_inv
	s_mov_b32 s5, 0x3febb67a
	v_add_co_u32 v6, s0, s12, v0
	v_add_co_ci_u32_e64 v7, null, s13, 0, s0
	ds_read_b128 v[0:3], v112
	v_add_co_u32 v16, s0, 0x5e80, v6
	v_add_co_ci_u32_e64 v17, s0, 0, v7, s0
	v_add_co_u32 v4, s0, 0x5800, v6
	v_add_co_ci_u32_e64 v5, s0, 0, v7, s0
	global_load_dwordx4 v[8:11], v[4:5], off offset:1664
	s_waitcnt vmcnt(0) lgkmcnt(0)
	v_mul_f64 v[4:5], v[2:3], v[10:11]
	v_fma_f64 v[12:13], v[0:1], v[8:9], -v[4:5]
	v_mul_f64 v[0:1], v[0:1], v[10:11]
	v_add_co_u32 v4, s0, 0x8800, v6
	v_add_co_ci_u32_e64 v5, s0, 0, v7, s0
	v_add_co_u32 v18, s0, 0x9000, v6
	v_add_co_ci_u32_e64 v19, s0, 0, v7, s0
	v_fma_f64 v[14:15], v[2:3], v[8:9], v[0:1]
	global_load_dwordx4 v[8:11], v[4:5], off offset:1472
	ds_read_b128 v[0:3], v112 offset:12096
	ds_write_b128 v112, v[12:15]
	s_waitcnt vmcnt(0) lgkmcnt(1)
	v_mul_f64 v[12:13], v[2:3], v[10:11]
	v_fma_f64 v[12:13], v[0:1], v[8:9], -v[12:13]
	v_mul_f64 v[0:1], v[0:1], v[10:11]
	v_fma_f64 v[14:15], v[2:3], v[8:9], v[0:1]
	global_load_dwordx4 v[8:11], v[16:17], off offset:1008
	ds_read_b128 v[0:3], v112 offset:1008
	ds_write_b128 v112, v[12:15] offset:12096
	s_waitcnt vmcnt(0) lgkmcnt(1)
	v_mul_f64 v[12:13], v[2:3], v[10:11]
	v_fma_f64 v[12:13], v[0:1], v[8:9], -v[12:13]
	v_mul_f64 v[0:1], v[0:1], v[10:11]
	v_fma_f64 v[14:15], v[2:3], v[8:9], v[0:1]
	global_load_dwordx4 v[8:11], v[18:19], off offset:432
	ds_read_b128 v[0:3], v112 offset:13104
	ds_write_b128 v112, v[12:15] offset:1008
	s_waitcnt vmcnt(0) lgkmcnt(1)
	v_mul_f64 v[12:13], v[2:3], v[10:11]
	v_fma_f64 v[12:13], v[0:1], v[8:9], -v[12:13]
	v_mul_f64 v[0:1], v[0:1], v[10:11]
	v_fma_f64 v[14:15], v[2:3], v[8:9], v[0:1]
	global_load_dwordx4 v[8:11], v[16:17], off offset:2016
	ds_read_b128 v[0:3], v112 offset:2016
	v_add_co_u32 v16, s0, 0x6800, v6
	v_add_co_ci_u32_e64 v17, s0, 0, v7, s0
	ds_write_b128 v112, v[12:15] offset:13104
	s_waitcnt vmcnt(0) lgkmcnt(1)
	v_mul_f64 v[12:13], v[2:3], v[10:11]
	v_fma_f64 v[12:13], v[0:1], v[8:9], -v[12:13]
	v_mul_f64 v[0:1], v[0:1], v[10:11]
	v_fma_f64 v[14:15], v[2:3], v[8:9], v[0:1]
	global_load_dwordx4 v[8:11], v[18:19], off offset:1440
	ds_read_b128 v[0:3], v112 offset:14112
	v_add_co_u32 v18, s0, 0x9800, v6
	v_add_co_ci_u32_e64 v19, s0, 0, v7, s0
	ds_write_b128 v112, v[12:15] offset:2016
	s_waitcnt vmcnt(0) lgkmcnt(1)
	v_mul_f64 v[12:13], v[2:3], v[10:11]
	v_fma_f64 v[12:13], v[0:1], v[8:9], -v[12:13]
	v_mul_f64 v[0:1], v[0:1], v[10:11]
	v_fma_f64 v[14:15], v[2:3], v[8:9], v[0:1]
	global_load_dwordx4 v[8:11], v[16:17], off offset:592
	ds_read_b128 v[0:3], v112 offset:3024
	ds_write_b128 v112, v[12:15] offset:14112
	s_waitcnt vmcnt(0) lgkmcnt(1)
	v_mul_f64 v[12:13], v[2:3], v[10:11]
	v_fma_f64 v[12:13], v[0:1], v[8:9], -v[12:13]
	v_mul_f64 v[0:1], v[0:1], v[10:11]
	v_fma_f64 v[14:15], v[2:3], v[8:9], v[0:1]
	global_load_dwordx4 v[8:11], v[18:19], off offset:400
	ds_read_b128 v[0:3], v112 offset:15120
	ds_write_b128 v112, v[12:15] offset:3024
	s_waitcnt vmcnt(0) lgkmcnt(1)
	v_mul_f64 v[12:13], v[2:3], v[10:11]
	v_fma_f64 v[12:13], v[0:1], v[8:9], -v[12:13]
	v_mul_f64 v[0:1], v[0:1], v[10:11]
	v_fma_f64 v[14:15], v[2:3], v[8:9], v[0:1]
	global_load_dwordx4 v[8:11], v[16:17], off offset:1600
	ds_read_b128 v[0:3], v112 offset:4032
	v_add_co_u32 v16, s0, 0x7000, v6
	v_add_co_ci_u32_e64 v17, s0, 0, v7, s0
	ds_write_b128 v112, v[12:15] offset:15120
	s_waitcnt vmcnt(0) lgkmcnt(1)
	v_mul_f64 v[12:13], v[2:3], v[10:11]
	v_fma_f64 v[12:13], v[0:1], v[8:9], -v[12:13]
	v_mul_f64 v[0:1], v[0:1], v[10:11]
	v_fma_f64 v[14:15], v[2:3], v[8:9], v[0:1]
	global_load_dwordx4 v[8:11], v[18:19], off offset:1408
	ds_read_b128 v[0:3], v112 offset:16128
	v_add_co_u32 v18, s0, 0xa000, v6
	v_add_co_ci_u32_e64 v19, s0, 0, v7, s0
	ds_write_b128 v112, v[12:15] offset:4032
	;; [unrolled: 36-line block ×4, first 2 shown]
	s_waitcnt vmcnt(0) lgkmcnt(1)
	v_mul_f64 v[12:13], v[2:3], v[10:11]
	v_fma_f64 v[12:13], v[0:1], v[8:9], -v[12:13]
	v_mul_f64 v[0:1], v[0:1], v[10:11]
	v_fma_f64 v[14:15], v[2:3], v[8:9], v[0:1]
	global_load_dwordx4 v[8:11], v[16:17], off offset:496
	ds_read_b128 v[0:3], v112 offset:9072
	ds_write_b128 v112, v[12:15] offset:20160
	s_waitcnt vmcnt(0) lgkmcnt(1)
	v_mul_f64 v[12:13], v[2:3], v[10:11]
	v_fma_f64 v[12:13], v[0:1], v[8:9], -v[12:13]
	v_mul_f64 v[0:1], v[0:1], v[10:11]
	v_fma_f64 v[14:15], v[2:3], v[8:9], v[0:1]
	global_load_dwordx4 v[8:11], v[18:19], off offset:304
	ds_read_b128 v[0:3], v112 offset:21168
	ds_write_b128 v112, v[12:15] offset:9072
	;; [unrolled: 8-line block ×5, first 2 shown]
	s_waitcnt vmcnt(0) lgkmcnt(1)
	v_mul_f64 v[4:5], v[2:3], v[10:11]
	v_fma_f64 v[12:13], v[0:1], v[8:9], -v[4:5]
	v_add_co_u32 v4, s0, 0xb800, v6
	v_add_co_ci_u32_e64 v5, s0, 0, v7, s0
	v_mul_f64 v[0:1], v[0:1], v[10:11]
	s_mov_b32 s0, 0xe8584caa
	s_mov_b32 s1, 0xbfebb67a
	global_load_dwordx4 v[4:7], v[4:5], off offset:272
	s_mov_b32 s4, s0
	v_fma_f64 v[14:15], v[2:3], v[8:9], v[0:1]
	ds_read_b128 v[0:3], v112 offset:23184
	ds_write_b128 v112, v[12:15] offset:11088
	s_waitcnt vmcnt(0) lgkmcnt(1)
	v_mul_f64 v[8:9], v[2:3], v[6:7]
	v_fma_f64 v[8:9], v[0:1], v[4:5], -v[8:9]
	v_mul_f64 v[0:1], v[0:1], v[6:7]
	v_fma_f64 v[10:11], v[2:3], v[4:5], v[0:1]
	ds_write_b128 v112, v[8:11] offset:23184
	s_waitcnt lgkmcnt(0)
	s_barrier
	buffer_gl0_inv
	ds_read_b128 v[0:3], v112
	ds_read_b128 v[4:7], v112 offset:12096
	ds_read_b128 v[8:11], v112 offset:1008
	;; [unrolled: 1-line block ×23, first 2 shown]
	s_waitcnt lgkmcnt(22)
	v_add_f64 v[196:197], v[0:1], -v[4:5]
	v_add_f64 v[198:199], v[2:3], -v[6:7]
	s_waitcnt lgkmcnt(0)
	s_barrier
	buffer_gl0_inv
	v_add_f64 v[12:13], v[8:9], -v[12:13]
	v_add_f64 v[14:15], v[10:11], -v[14:15]
	;; [unrolled: 1-line block ×17, first 2 shown]
	v_fma_f64 v[200:201], v[0:1], 2.0, -v[196:197]
	v_fma_f64 v[202:203], v[2:3], 2.0, -v[198:199]
	ds_write_b128 v115, v[200:203]
	ds_write_b128 v115, v[196:199] offset:16
	buffer_load_dword v92, off, s[28:31], 0 offset:996 ; 4-byte Folded Reload
	v_fma_f64 v[204:205], v[8:9], 2.0, -v[12:13]
	v_fma_f64 v[206:207], v[10:11], 2.0, -v[14:15]
	;; [unrolled: 1-line block ×16, first 2 shown]
	v_add_f64 v[186:187], v[90:91], -v[94:95]
	v_fma_f64 v[88:89], v[88:89], 2.0, -v[184:185]
	v_add_f64 v[8:9], v[96:97], -v[100:101]
	v_add_f64 v[10:11], v[98:99], -v[102:103]
	v_add_f64 v[0:1], v[188:189], -v[192:193]
	v_add_f64 v[2:3], v[190:191], -v[194:195]
	s_waitcnt vmcnt(0)
	ds_write_b128 v92, v[204:207]
	ds_write_b128 v92, v[12:15] offset:16
	buffer_load_dword v12, off, s[28:31], 0 offset:1524 ; 4-byte Folded Reload
	v_fma_f64 v[90:91], v[90:91], 2.0, -v[186:187]
	v_fma_f64 v[180:181], v[96:97], 2.0, -v[8:9]
	;; [unrolled: 1-line block ×5, first 2 shown]
	s_waitcnt vmcnt(0)
	ds_write_b128 v12, v[16:19]
	ds_write_b128 v12, v[20:23] offset:16
	buffer_load_dword v12, off, s[28:31], 0 offset:1516 ; 4-byte Folded Reload
	s_waitcnt vmcnt(0)
	ds_write_b128 v12, v[24:27]
	ds_write_b128 v12, v[28:31] offset:16
	buffer_load_dword v12, off, s[28:31], 0 offset:1512 ; 4-byte Folded Reload
	s_waitcnt vmcnt(0)
	ds_write_b128 v12, v[32:35]
	ds_write_b128 v12, v[36:39] offset:16
	buffer_load_dword v12, off, s[28:31], 0 offset:1504 ; 4-byte Folded Reload
	s_waitcnt vmcnt(0)
	ds_write_b128 v12, v[40:43]
	ds_write_b128 v12, v[44:47] offset:16
	buffer_load_dword v12, off, s[28:31], 0 offset:1492 ; 4-byte Folded Reload
	s_waitcnt vmcnt(0)
	ds_write_b128 v12, v[48:51]
	ds_write_b128 v12, v[52:55] offset:16
	buffer_load_dword v12, off, s[28:31], 0 offset:1480 ; 4-byte Folded Reload
	s_waitcnt vmcnt(0)
	ds_write_b128 v12, v[56:59]
	ds_write_b128 v12, v[60:63] offset:16
	buffer_load_dword v12, off, s[28:31], 0 offset:1528 ; 4-byte Folded Reload
	s_waitcnt vmcnt(0)
	ds_write_b128 v12, v[80:83]
	ds_write_b128 v12, v[84:87] offset:16
	buffer_load_dword v12, off, s[28:31], 0 offset:1468 ; 4-byte Folded Reload
	s_waitcnt vmcnt(0)
	ds_write_b128 v12, v[88:91]
	ds_write_b128 v12, v[184:187] offset:16
	buffer_load_dword v12, off, s[28:31], 0 offset:1448 ; 4-byte Folded Reload
	s_waitcnt vmcnt(0)
	ds_write_b128 v12, v[180:183]
	ds_write_b128 v12, v[8:11] offset:16
	buffer_load_dword v8, off, s[28:31], 0 offset:1520 ; 4-byte Folded Reload
	s_waitcnt vmcnt(0)
	ds_write_b128 v8, v[4:7]
	ds_write_b128 v8, v[0:3] offset:16
	s_waitcnt lgkmcnt(0)
	s_barrier
	buffer_gl0_inv
	ds_read_b128 v[180:183], v112
	ds_read_b128 v[12:15], v112 offset:12096
	ds_read_b128 v[8:11], v112 offset:1008
	;; [unrolled: 1-line block ×23, first 2 shown]
	s_clause 0x1
	buffer_load_dword v190, off, s[28:31], 0 offset:1572
	buffer_load_dword v191, off, s[28:31], 0 offset:1576
	s_waitcnt lgkmcnt(22)
	v_mul_f64 v[114:115], v[150:151], v[14:15]
	v_fma_f64 v[114:115], v[148:149], v[12:13], v[114:115]
	v_mul_f64 v[12:13], v[150:151], v[12:13]
	v_fma_f64 v[14:15], v[148:149], v[14:15], -v[12:13]
	s_waitcnt lgkmcnt(20)
	v_mul_f64 v[12:13], v[146:147], v[18:19]
	v_add_f64 v[14:15], v[182:183], -v[14:15]
	s_waitcnt vmcnt(0)
	v_fma_f64 v[188:189], v[190:191], v[16:17], v[12:13]
	v_mul_f64 v[12:13], v[146:147], v[16:17]
	s_clause 0x1
	buffer_load_dword v16, off, s[28:31], 0 offset:1460
	buffer_load_dword v17, off, s[28:31], 0 offset:1464
	s_waitcnt vmcnt(0) lgkmcnt(0)
	s_barrier
	buffer_gl0_inv
	v_fma_f64 v[146:147], v[190:191], v[18:19], -v[12:13]
	v_mul_f64 v[12:13], v[150:151], v[22:23]
	v_fma_f64 v[18:19], v[182:183], 2.0, -v[14:15]
	v_fma_f64 v[190:191], v[148:149], v[20:21], v[12:13]
	v_mul_f64 v[12:13], v[150:151], v[20:21]
	v_add_f64 v[20:21], v[8:9], -v[188:189]
	v_fma_f64 v[192:193], v[148:149], v[22:23], -v[12:13]
	v_mul_f64 v[12:13], v[174:175], v[26:27]
	v_add_f64 v[22:23], v[10:11], -v[146:147]
	v_fma_f64 v[8:9], v[8:9], 2.0, -v[20:21]
	v_fma_f64 v[194:195], v[172:173], v[24:25], v[12:13]
	v_mul_f64 v[12:13], v[174:175], v[24:25]
	v_add_f64 v[24:25], v[4:5], -v[190:191]
	v_fma_f64 v[10:11], v[10:11], 2.0, -v[22:23]
	v_fma_f64 v[172:173], v[172:173], v[26:27], -v[12:13]
	v_mul_f64 v[12:13], v[150:151], v[34:35]
	v_add_f64 v[26:27], v[6:7], -v[192:193]
	v_fma_f64 v[174:175], v[148:149], v[32:33], v[12:13]
	v_mul_f64 v[12:13], v[150:151], v[32:33]
	v_fma_f64 v[32:33], v[4:5], 2.0, -v[24:25]
	v_fma_f64 v[196:197], v[148:149], v[34:35], -v[12:13]
	v_mul_f64 v[12:13], v[170:171], v[42:43]
	v_fma_f64 v[34:35], v[6:7], 2.0, -v[26:27]
	v_fma_f64 v[198:199], v[168:169], v[40:41], v[12:13]
	v_mul_f64 v[12:13], v[170:171], v[40:41]
	v_add_f64 v[40:41], v[0:1], -v[194:195]
	v_fma_f64 v[168:169], v[168:169], v[42:43], -v[12:13]
	v_mul_f64 v[12:13], v[150:151], v[50:51]
	v_add_f64 v[42:43], v[2:3], -v[172:173]
	v_fma_f64 v[170:171], v[148:149], v[48:49], v[12:13]
	v_mul_f64 v[12:13], v[150:151], v[48:49]
	v_fma_f64 v[48:49], v[0:1], 2.0, -v[40:41]
	v_fma_f64 v[200:201], v[148:149], v[50:51], -v[12:13]
	v_mul_f64 v[12:13], v[166:167], v[58:59]
	v_fma_f64 v[50:51], v[2:3], 2.0, -v[42:43]
	v_fma_f64 v[202:203], v[164:165], v[56:57], v[12:13]
	v_mul_f64 v[12:13], v[166:167], v[56:57]
	v_add_f64 v[56:57], v[28:29], -v[174:175]
	v_fma_f64 v[164:165], v[164:165], v[58:59], -v[12:13]
	v_mul_f64 v[12:13], v[150:151], v[82:83]
	v_add_f64 v[58:59], v[30:31], -v[196:197]
	v_fma_f64 v[28:29], v[28:29], 2.0, -v[56:57]
	v_fma_f64 v[166:167], v[148:149], v[80:81], v[12:13]
	v_mul_f64 v[12:13], v[150:151], v[80:81]
	v_fma_f64 v[30:31], v[30:31], 2.0, -v[58:59]
	v_add_f64 v[80:81], v[36:37], -v[198:199]
	v_fma_f64 v[204:205], v[148:149], v[82:83], -v[12:13]
	v_mul_f64 v[12:13], v[162:163], v[90:91]
	v_add_f64 v[82:83], v[38:39], -v[168:169]
	v_fma_f64 v[36:37], v[36:37], 2.0, -v[80:81]
	v_add_f64 v[146:147], v[62:63], -v[204:205]
	v_fma_f64 v[206:207], v[160:161], v[88:89], v[12:13]
	v_mul_f64 v[12:13], v[162:163], v[88:89]
	v_fma_f64 v[38:39], v[38:39], 2.0, -v[82:83]
	v_add_f64 v[88:89], v[44:45], -v[170:171]
	v_fma_f64 v[62:63], v[62:63], 2.0, -v[146:147]
	v_fma_f64 v[160:161], v[160:161], v[90:91], -v[12:13]
	v_mul_f64 v[12:13], v[150:151], v[98:99]
	v_add_f64 v[90:91], v[46:47], -v[200:201]
	v_fma_f64 v[44:45], v[44:45], 2.0, -v[88:89]
	v_fma_f64 v[162:163], v[148:149], v[96:97], v[12:13]
	v_mul_f64 v[12:13], v[150:151], v[96:97]
	v_fma_f64 v[46:47], v[46:47], 2.0, -v[90:91]
	v_add_f64 v[96:97], v[52:53], -v[202:203]
	v_add_f64 v[150:151], v[86:87], -v[160:161]
	;; [unrolled: 1-line block ×3, first 2 shown]
	v_fma_f64 v[208:209], v[148:149], v[98:99], -v[12:13]
	v_mul_f64 v[12:13], v[16:17], v[186:187]
	v_add_f64 v[98:99], v[54:55], -v[164:165]
	v_fma_f64 v[52:53], v[52:53], 2.0, -v[96:97]
	v_add_f64 v[148:149], v[84:85], -v[206:207]
	v_fma_f64 v[86:87], v[86:87], 2.0, -v[150:151]
	v_fma_f64 v[92:93], v[92:93], 2.0, -v[160:161]
	v_add_f64 v[162:163], v[94:95], -v[208:209]
	v_fma_f64 v[210:211], v[144:145], v[184:185], v[12:13]
	v_mul_f64 v[12:13], v[16:17], v[184:185]
	v_fma_f64 v[54:55], v[54:55], 2.0, -v[98:99]
	v_fma_f64 v[84:85], v[84:85], 2.0, -v[148:149]
	;; [unrolled: 1-line block ×3, first 2 shown]
	v_add_f64 v[0:1], v[100:101], -v[210:211]
	v_fma_f64 v[184:185], v[144:145], v[186:187], -v[12:13]
	v_add_f64 v[12:13], v[180:181], -v[114:115]
	v_add_f64 v[144:145], v[60:61], -v[166:167]
	v_fma_f64 v[4:5], v[100:101], 2.0, -v[0:1]
	buffer_load_dword v100, off, s[28:31], 0 offset:1508 ; 4-byte Folded Reload
	v_fma_f64 v[16:17], v[180:181], 2.0, -v[12:13]
	v_fma_f64 v[60:61], v[60:61], 2.0, -v[144:145]
	v_add_f64 v[2:3], v[102:103], -v[184:185]
	s_waitcnt vmcnt(0)
	ds_write_b128 v100, v[16:19]
	ds_write_b128 v100, v[12:15] offset:32
	buffer_load_dword v12, off, s[28:31], 0 offset:1500 ; 4-byte Folded Reload
	v_fma_f64 v[6:7], v[102:103], 2.0, -v[2:3]
	s_waitcnt vmcnt(0)
	ds_write_b128 v12, v[8:11]
	ds_write_b128 v12, v[20:23] offset:32
	buffer_load_dword v8, off, s[28:31], 0 offset:1496 ; 4-byte Folded Reload
	s_waitcnt vmcnt(0)
	ds_write_b128 v8, v[32:35]
	ds_write_b128 v8, v[24:27] offset:32
	buffer_load_dword v8, off, s[28:31], 0 offset:1596 ; 4-byte Folded Reload
	;; [unrolled: 4-line block ×10, first 2 shown]
	s_waitcnt vmcnt(0)
	ds_write_b128 v8, v[4:7]
	ds_write_b128 v8, v[0:3] offset:32
	s_waitcnt lgkmcnt(0)
	s_barrier
	buffer_gl0_inv
	ds_read_b128 v[160:163], v112
	ds_read_b128 v[12:15], v112 offset:12096
	ds_read_b128 v[148:151], v112 offset:1008
	;; [unrolled: 1-line block ×23, first 2 shown]
	s_clause 0x1
	buffer_load_dword v114, off, s[28:31], 0 offset:1548
	buffer_load_dword v115, off, s[28:31], 0 offset:1552
	s_waitcnt lgkmcnt(22)
	v_mul_f64 v[100:101], v[142:143], v[14:15]
	v_fma_f64 v[100:101], v[140:141], v[12:13], v[100:101]
	v_mul_f64 v[12:13], v[142:143], v[12:13]
	v_fma_f64 v[14:15], v[140:141], v[14:15], -v[12:13]
	s_waitcnt lgkmcnt(20)
	v_mul_f64 v[12:13], v[138:139], v[18:19]
	v_add_f64 v[14:15], v[162:163], -v[14:15]
	s_waitcnt vmcnt(0)
	v_fma_f64 v[102:103], v[114:115], v[16:17], v[12:13]
	v_mul_f64 v[12:13], v[138:139], v[16:17]
	s_clause 0x1
	buffer_load_dword v16, off, s[28:31], 0 offset:1532
	buffer_load_dword v17, off, s[28:31], 0 offset:1536
	v_fma_f64 v[114:115], v[114:115], v[18:19], -v[12:13]
	s_waitcnt lgkmcnt(18)
	v_mul_f64 v[12:13], v[134:135], v[22:23]
	v_fma_f64 v[18:19], v[162:163], 2.0, -v[14:15]
	s_waitcnt vmcnt(0)
	v_fma_f64 v[138:139], v[16:17], v[20:21], v[12:13]
	v_mul_f64 v[12:13], v[134:135], v[20:21]
	v_add_f64 v[20:21], v[148:149], -v[102:103]
	v_fma_f64 v[134:135], v[16:17], v[22:23], -v[12:13]
	s_clause 0x1
	buffer_load_dword v16, off, s[28:31], 0 offset:1540
	buffer_load_dword v17, off, s[28:31], 0 offset:1544
	s_waitcnt lgkmcnt(16)
	v_mul_f64 v[12:13], v[130:131], v[26:27]
	v_add_f64 v[22:23], v[150:151], -v[114:115]
	s_waitcnt vmcnt(0)
	v_fma_f64 v[164:165], v[16:17], v[24:25], v[12:13]
	v_mul_f64 v[12:13], v[130:131], v[24:25]
	v_fma_f64 v[24:25], v[148:149], 2.0, -v[20:21]
	v_fma_f64 v[130:131], v[16:17], v[26:27], -v[12:13]
	s_clause 0x1
	buffer_load_dword v16, off, s[28:31], 0 offset:1472
	buffer_load_dword v17, off, s[28:31], 0 offset:1476
	s_waitcnt lgkmcnt(14)
	v_mul_f64 v[12:13], v[142:143], v[30:31]
	v_fma_f64 v[26:27], v[150:151], 2.0, -v[22:23]
	v_fma_f64 v[166:167], v[140:141], v[28:29], v[12:13]
	v_mul_f64 v[12:13], v[142:143], v[28:29]
	v_add_f64 v[28:29], v[144:145], -v[138:139]
	v_fma_f64 v[168:169], v[140:141], v[30:31], -v[12:13]
	s_waitcnt lgkmcnt(12)
	v_mul_f64 v[12:13], v[158:159], v[34:35]
	v_add_f64 v[30:31], v[146:147], -v[134:135]
	v_fma_f64 v[170:171], v[156:157], v[32:33], v[12:13]
	v_mul_f64 v[12:13], v[158:159], v[32:33]
	v_fma_f64 v[32:33], v[144:145], 2.0, -v[28:29]
	v_fma_f64 v[156:157], v[156:157], v[34:35], -v[12:13]
	s_waitcnt lgkmcnt(10)
	v_mul_f64 v[12:13], v[154:155], v[42:43]
	v_fma_f64 v[34:35], v[146:147], 2.0, -v[30:31]
	v_fma_f64 v[158:159], v[152:153], v[40:41], v[12:13]
	v_mul_f64 v[12:13], v[154:155], v[40:41]
	v_add_f64 v[40:41], v[8:9], -v[164:165]
	v_fma_f64 v[152:153], v[152:153], v[42:43], -v[12:13]
	s_waitcnt lgkmcnt(8)
	v_mul_f64 v[12:13], v[178:179], v[50:51]
	v_add_f64 v[42:43], v[10:11], -v[130:131]
	v_add_f64 v[102:103], v[38:39], -v[152:153]
	v_fma_f64 v[154:155], v[176:177], v[48:49], v[12:13]
	v_mul_f64 v[12:13], v[178:179], v[48:49]
	v_fma_f64 v[48:49], v[8:9], 2.0, -v[40:41]
	v_fma_f64 v[38:39], v[38:39], 2.0, -v[102:103]
	v_fma_f64 v[172:173], v[176:177], v[50:51], -v[12:13]
	s_waitcnt lgkmcnt(6)
	v_mul_f64 v[12:13], v[142:143], v[58:59]
	v_fma_f64 v[50:51], v[10:11], 2.0, -v[42:43]
	v_add_f64 v[130:131], v[46:47], -v[172:173]
	v_fma_f64 v[174:175], v[140:141], v[56:57], v[12:13]
	v_mul_f64 v[12:13], v[142:143], v[56:57]
	v_add_f64 v[56:57], v[4:5], -v[166:167]
	v_fma_f64 v[46:47], v[46:47], 2.0, -v[130:131]
	v_fma_f64 v[140:141], v[140:141], v[58:59], -v[12:13]
	v_add_f64 v[58:59], v[6:7], -v[168:169]
	v_add_f64 v[134:135], v[54:55], -v[140:141]
	v_fma_f64 v[54:55], v[54:55], 2.0, -v[134:135]
	s_waitcnt vmcnt(0) lgkmcnt(4)
	v_mul_f64 v[12:13], v[16:17], v[82:83]
	v_fma_f64 v[142:143], v[136:137], v[80:81], v[12:13]
	v_mul_f64 v[12:13], v[16:17], v[80:81]
	s_clause 0x1
	buffer_load_dword v16, off, s[28:31], 0 offset:1484
	buffer_load_dword v17, off, s[28:31], 0 offset:1488
	v_fma_f64 v[80:81], v[4:5], 2.0, -v[56:57]
	v_fma_f64 v[176:177], v[136:137], v[82:83], -v[12:13]
	v_fma_f64 v[82:83], v[6:7], 2.0, -v[58:59]
	v_add_f64 v[136:137], v[60:61], -v[142:143]
	v_add_f64 v[138:139], v[62:63], -v[176:177]
	v_fma_f64 v[60:61], v[60:61], 2.0, -v[136:137]
	v_fma_f64 v[62:63], v[62:63], 2.0, -v[138:139]
	s_waitcnt vmcnt(0) lgkmcnt(2)
	v_mul_f64 v[12:13], v[16:17], v[90:91]
	v_fma_f64 v[178:179], v[132:133], v[88:89], v[12:13]
	v_mul_f64 v[12:13], v[16:17], v[88:89]
	s_clause 0x1
	buffer_load_dword v16, off, s[28:31], 0 offset:1452
	buffer_load_dword v17, off, s[28:31], 0 offset:1456
	v_add_f64 v[88:89], v[0:1], -v[170:171]
	s_waitcnt vmcnt(0) lgkmcnt(0)
	s_barrier
	buffer_gl0_inv
	v_add_f64 v[4:5], v[84:85], -v[178:179]
	v_fma_f64 v[180:181], v[132:133], v[90:91], -v[12:13]
	v_add_f64 v[90:91], v[2:3], -v[156:157]
	v_add_f64 v[132:133], v[52:53], -v[174:175]
	v_fma_f64 v[84:85], v[84:85], 2.0, -v[4:5]
	v_add_f64 v[6:7], v[86:87], -v[180:181]
	v_fma_f64 v[52:53], v[52:53], 2.0, -v[132:133]
	v_fma_f64 v[86:87], v[86:87], 2.0, -v[6:7]
	v_mul_f64 v[12:13], v[16:17], v[98:99]
	v_fma_f64 v[182:183], v[128:129], v[96:97], v[12:13]
	v_mul_f64 v[12:13], v[16:17], v[96:97]
	v_fma_f64 v[96:97], v[0:1], 2.0, -v[88:89]
	v_add_f64 v[0:1], v[92:93], -v[182:183]
	v_fma_f64 v[184:185], v[128:129], v[98:99], -v[12:13]
	v_add_f64 v[12:13], v[160:161], -v[100:101]
	v_fma_f64 v[98:99], v[2:3], 2.0, -v[90:91]
	v_add_f64 v[100:101], v[36:37], -v[158:159]
	v_add_f64 v[128:129], v[44:45], -v[154:155]
	v_fma_f64 v[8:9], v[92:93], 2.0, -v[0:1]
	buffer_load_dword v92, off, s[28:31], 0 offset:1444 ; 4-byte Folded Reload
	v_fma_f64 v[16:17], v[160:161], 2.0, -v[12:13]
	v_add_f64 v[2:3], v[94:95], -v[184:185]
	v_fma_f64 v[36:37], v[36:37], 2.0, -v[100:101]
	v_fma_f64 v[44:45], v[44:45], 2.0, -v[128:129]
	s_waitcnt vmcnt(0)
	ds_write_b128 v92, v[16:19]
	ds_write_b128 v92, v[12:15] offset:64
	buffer_load_dword v12, off, s[28:31], 0 offset:1440 ; 4-byte Folded Reload
	v_fma_f64 v[10:11], v[94:95], 2.0, -v[2:3]
	s_waitcnt vmcnt(0)
	ds_write_b128 v12, v[24:27]
	ds_write_b128 v12, v[20:23] offset:64
	buffer_load_dword v12, off, s[28:31], 0 offset:1436 ; 4-byte Folded Reload
	s_waitcnt vmcnt(0)
	ds_write_b128 v12, v[32:35]
	ds_write_b128 v12, v[28:31] offset:64
	buffer_load_dword v12, off, s[28:31], 0 offset:1432 ; 4-byte Folded Reload
	;; [unrolled: 4-line block ×10, first 2 shown]
	s_waitcnt vmcnt(0)
	ds_write_b128 v4, v[8:11]
	ds_write_b128 v4, v[0:3] offset:64
	s_waitcnt lgkmcnt(0)
	s_barrier
	buffer_gl0_inv
	ds_read_b128 v[144:147], v112
	ds_read_b128 v[12:15], v112 offset:8064
	ds_read_b128 v[16:19], v112 offset:16128
	;; [unrolled: 1-line block ×23, first 2 shown]
	s_clause 0x7
	buffer_load_dword v94, off, s[28:31], 0 offset:1348
	buffer_load_dword v95, off, s[28:31], 0 offset:1352
	;; [unrolled: 1-line block ×8, first 2 shown]
	s_waitcnt vmcnt(4) lgkmcnt(22)
	v_mul_f64 v[92:93], v[96:97], v[14:15]
	v_fma_f64 v[92:93], v[94:95], v[12:13], v[92:93]
	v_mul_f64 v[12:13], v[96:97], v[12:13]
	v_fma_f64 v[94:95], v[94:95], v[14:15], -v[12:13]
	s_waitcnt vmcnt(0) lgkmcnt(21)
	v_mul_f64 v[12:13], v[100:101], v[18:19]
	v_fma_f64 v[96:97], v[98:99], v[16:17], v[12:13]
	v_mul_f64 v[12:13], v[100:101], v[16:17]
	s_clause 0x3
	buffer_load_dword v14, off, s[28:31], 0 offset:1304
	buffer_load_dword v15, off, s[28:31], 0 offset:1308
	;; [unrolled: 1-line block ×4, first 2 shown]
	v_fma_f64 v[98:99], v[98:99], v[18:19], -v[12:13]
	s_waitcnt vmcnt(0) lgkmcnt(19)
	v_mul_f64 v[12:13], v[16:17], v[22:23]
	v_fma_f64 v[100:101], v[14:15], v[20:21], v[12:13]
	v_mul_f64 v[12:13], v[16:17], v[20:21]
	s_waitcnt lgkmcnt(0)
	v_mul_f64 v[20:21], v[122:123], v[88:89]
	v_fma_f64 v[102:103], v[14:15], v[22:23], -v[12:13]
	s_clause 0x3
	buffer_load_dword v14, off, s[28:31], 0 offset:1288
	buffer_load_dword v15, off, s[28:31], 0 offset:1292
	;; [unrolled: 1-line block ×4, first 2 shown]
	v_fma_f64 v[20:21], v[120:121], v[90:91], -v[20:21]
	s_waitcnt vmcnt(0)
	v_mul_f64 v[12:13], v[16:17], v[26:27]
	v_fma_f64 v[114:115], v[14:15], v[24:25], v[12:13]
	v_mul_f64 v[12:13], v[16:17], v[24:25]
	v_fma_f64 v[148:149], v[14:15], v[26:27], -v[12:13]
	s_clause 0x3
	buffer_load_dword v14, off, s[28:31], 0 offset:1400
	buffer_load_dword v15, off, s[28:31], 0 offset:1404
	;; [unrolled: 1-line block ×4, first 2 shown]
	s_waitcnt vmcnt(0)
	v_mul_f64 v[12:13], v[16:17], v[30:31]
	v_fma_f64 v[150:151], v[14:15], v[28:29], v[12:13]
	v_mul_f64 v[12:13], v[16:17], v[28:29]
	v_fma_f64 v[152:153], v[14:15], v[30:31], -v[12:13]
	s_clause 0x3
	buffer_load_dword v14, off, s[28:31], 0 offset:1384
	buffer_load_dword v15, off, s[28:31], 0 offset:1388
	;; [unrolled: 1-line block ×4, first 2 shown]
	v_mul_f64 v[12:13], v[70:71], v[34:35]
	v_fma_f64 v[154:155], v[68:69], v[32:33], v[12:13]
	v_mul_f64 v[12:13], v[70:71], v[32:33]
	v_fma_f64 v[156:157], v[68:69], v[34:35], -v[12:13]
	v_mul_f64 v[12:13], v[78:79], v[38:39]
	v_fma_f64 v[158:159], v[76:77], v[36:37], v[12:13]
	v_mul_f64 v[12:13], v[78:79], v[36:37]
	v_fma_f64 v[160:161], v[76:77], v[38:39], -v[12:13]
	s_waitcnt vmcnt(0)
	v_mul_f64 v[12:13], v[16:17], v[42:43]
	v_fma_f64 v[162:163], v[14:15], v[40:41], v[12:13]
	v_mul_f64 v[12:13], v[16:17], v[40:41]
	v_fma_f64 v[164:165], v[14:15], v[42:43], -v[12:13]
	s_clause 0x3
	buffer_load_dword v14, off, s[28:31], 0 offset:1368
	buffer_load_dword v15, off, s[28:31], 0 offset:1372
	;; [unrolled: 1-line block ×4, first 2 shown]
	v_mul_f64 v[12:13], v[110:111], v[46:47]
	s_waitcnt vmcnt(0)
	s_barrier
	buffer_gl0_inv
	v_fma_f64 v[36:37], v[108:109], v[44:45], v[12:13]
	v_mul_f64 v[12:13], v[110:111], v[44:45]
	v_add_f64 v[44:45], v[144:145], v[92:93]
	v_fma_f64 v[38:39], v[108:109], v[46:47], -v[12:13]
	v_mul_f64 v[12:13], v[74:75], v[50:51]
	v_add_f64 v[46:47], v[94:95], -v[98:99]
	v_fma_f64 v[40:41], v[72:73], v[48:49], v[12:13]
	v_mul_f64 v[12:13], v[74:75], v[48:49]
	v_fma_f64 v[42:43], v[72:73], v[50:51], -v[12:13]
	v_mul_f64 v[12:13], v[126:127], v[54:55]
	v_add_f64 v[50:51], v[38:39], -v[42:43]
	v_fma_f64 v[28:29], v[124:125], v[52:53], v[12:13]
	v_mul_f64 v[12:13], v[126:127], v[52:53]
	v_fma_f64 v[32:33], v[124:125], v[54:55], -v[12:13]
	v_mul_f64 v[12:13], v[118:119], v[58:59]
	v_fma_f64 v[30:31], v[116:117], v[56:57], v[12:13]
	v_mul_f64 v[12:13], v[118:119], v[56:57]
	v_fma_f64 v[34:35], v[116:117], v[58:59], -v[12:13]
	v_mul_f64 v[12:13], v[16:17], v[62:63]
	;; [unrolled: 4-line block ×3, first 2 shown]
	v_mul_f64 v[14:15], v[66:67], v[84:85]
	v_fma_f64 v[22:23], v[104:105], v[80:81], v[12:13]
	v_mul_f64 v[12:13], v[106:107], v[80:81]
	v_fma_f64 v[16:17], v[64:65], v[86:87], -v[14:15]
	v_mul_f64 v[14:15], v[122:123], v[90:91]
	v_fma_f64 v[26:27], v[104:105], v[82:83], -v[12:13]
	v_mul_f64 v[12:13], v[66:67], v[86:87]
	v_fma_f64 v[14:15], v[120:121], v[88:89], v[14:15]
	v_fma_f64 v[12:13], v[64:65], v[84:85], v[12:13]
	v_add_f64 v[64:65], v[44:45], v[96:97]
	v_add_f64 v[44:45], v[92:93], v[96:97]
	v_fma_f64 v[44:45], v[44:45], -0.5, v[144:145]
	v_fma_f64 v[72:73], v[46:47], s[0:1], v[44:45]
	v_fma_f64 v[68:69], v[46:47], s[4:5], v[44:45]
	v_add_f64 v[44:45], v[146:147], v[94:95]
	v_add_f64 v[46:47], v[92:93], -v[96:97]
	v_add_f64 v[66:67], v[44:45], v[98:99]
	v_add_f64 v[44:45], v[94:95], v[98:99]
	v_fma_f64 v[44:45], v[44:45], -0.5, v[146:147]
	v_fma_f64 v[74:75], v[46:47], s[4:5], v[44:45]
	v_fma_f64 v[70:71], v[46:47], s[0:1], v[44:45]
	v_add_f64 v[44:45], v[140:141], v[100:101]
	v_add_f64 v[46:47], v[102:103], -v[148:149]
	;; [unrolled: 7-line block ×7, first 2 shown]
	v_add_f64 v[102:103], v[44:45], v[164:165]
	v_add_f64 v[44:45], v[160:161], v[164:165]
	v_fma_f64 v[44:45], v[44:45], -0.5, v[134:135]
	v_fma_f64 v[110:111], v[46:47], s[4:5], v[44:45]
	v_fma_f64 v[106:107], v[46:47], s[0:1], v[44:45]
	v_add_f64 v[46:47], v[36:37], v[40:41]
	v_add_f64 v[44:45], v[128:129], v[36:37]
	v_add_f64 v[36:37], v[36:37], -v[40:41]
	v_fma_f64 v[46:47], v[46:47], -0.5, v[128:129]
	v_add_f64 v[44:45], v[44:45], v[40:41]
	v_add_f64 v[40:41], v[32:33], -v[34:35]
	v_fma_f64 v[48:49], v[50:51], s[0:1], v[46:47]
	v_fma_f64 v[52:53], v[50:51], s[4:5], v[46:47]
	v_add_f64 v[46:47], v[130:131], v[38:39]
	v_add_f64 v[38:39], v[38:39], v[42:43]
	;; [unrolled: 1-line block ×3, first 2 shown]
	v_fma_f64 v[38:39], v[38:39], -0.5, v[130:131]
	v_fma_f64 v[50:51], v[36:37], s[4:5], v[38:39]
	v_fma_f64 v[54:55], v[36:37], s[0:1], v[38:39]
	v_add_f64 v[38:39], v[28:29], v[30:31]
	v_add_f64 v[36:37], v[8:9], v[28:29]
	v_add_f64 v[28:29], v[28:29], -v[30:31]
	v_fma_f64 v[38:39], v[38:39], -0.5, v[8:9]
	v_add_f64 v[36:37], v[36:37], v[30:31]
	v_add_f64 v[30:31], v[18:19], v[22:23]
	v_fma_f64 v[8:9], v[40:41], s[0:1], v[38:39]
	v_fma_f64 v[40:41], v[40:41], s[4:5], v[38:39]
	v_add_f64 v[38:39], v[10:11], v[32:33]
	v_add_f64 v[32:33], v[32:33], v[34:35]
	v_fma_f64 v[30:31], v[30:31], -0.5, v[4:5]
	v_add_f64 v[38:39], v[38:39], v[34:35]
	v_fma_f64 v[32:33], v[32:33], -0.5, v[10:11]
	v_fma_f64 v[10:11], v[28:29], s[4:5], v[32:33]
	v_fma_f64 v[42:43], v[28:29], s[0:1], v[32:33]
	v_add_f64 v[32:33], v[24:25], -v[26:27]
	v_add_f64 v[28:29], v[4:5], v[18:19]
	v_add_f64 v[18:19], v[18:19], -v[22:23]
	v_fma_f64 v[4:5], v[32:33], s[0:1], v[30:31]
	v_fma_f64 v[32:33], v[32:33], s[4:5], v[30:31]
	v_add_f64 v[30:31], v[6:7], v[24:25]
	v_add_f64 v[24:25], v[24:25], v[26:27]
	;; [unrolled: 1-line block ×4, first 2 shown]
	v_fma_f64 v[24:25], v[24:25], -0.5, v[6:7]
	v_fma_f64 v[6:7], v[18:19], s[4:5], v[24:25]
	v_fma_f64 v[34:35], v[18:19], s[0:1], v[24:25]
	v_add_f64 v[18:19], v[0:1], v[12:13]
	v_add_f64 v[24:25], v[16:17], -v[20:21]
	v_add_f64 v[22:23], v[18:19], v[14:15]
	v_add_f64 v[18:19], v[12:13], v[14:15]
	v_add_f64 v[12:13], v[12:13], -v[14:15]
	v_fma_f64 v[18:19], v[18:19], -0.5, v[0:1]
	v_fma_f64 v[0:1], v[24:25], s[0:1], v[18:19]
	v_fma_f64 v[18:19], v[24:25], s[4:5], v[18:19]
	v_add_f64 v[24:25], v[2:3], v[16:17]
	v_add_f64 v[16:17], v[16:17], v[20:21]
	;; [unrolled: 1-line block ×3, first 2 shown]
	v_fma_f64 v[16:17], v[16:17], -0.5, v[2:3]
	v_fma_f64 v[2:3], v[12:13], s[4:5], v[16:17]
	v_fma_f64 v[20:21], v[12:13], s[0:1], v[16:17]
	buffer_load_dword v12, off, s[28:31], 0 offset:1096 ; 4-byte Folded Reload
	s_waitcnt vmcnt(0)
	ds_write_b128 v12, v[64:67]
	ds_write_b128 v12, v[72:75] offset:128
	ds_write_b128 v12, v[68:71] offset:256
	buffer_load_dword v12, off, s[28:31], 0 offset:1100 ; 4-byte Folded Reload
	s_waitcnt vmcnt(0)
	ds_write_b128 v12, v[76:79]
	ds_write_b128 v12, v[84:87] offset:128
	ds_write_b128 v12, v[80:83] offset:256
	;; [unrolled: 5-line block ×8, first 2 shown]
	s_waitcnt lgkmcnt(0)
	s_barrier
	buffer_gl0_inv
	ds_read_b128 v[80:83], v112
	ds_read_b128 v[12:15], v112 offset:8064
	ds_read_b128 v[16:19], v112 offset:16128
	;; [unrolled: 1-line block ×23, first 2 shown]
	s_clause 0x7
	buffer_load_dword v54, off, s[28:31], 0 offset:1000
	buffer_load_dword v55, off, s[28:31], 0 offset:1004
	;; [unrolled: 1-line block ×8, first 2 shown]
	s_waitcnt vmcnt(4) lgkmcnt(22)
	v_mul_f64 v[52:53], v[56:57], v[14:15]
	v_fma_f64 v[52:53], v[54:55], v[12:13], v[52:53]
	v_mul_f64 v[12:13], v[56:57], v[12:13]
	v_fma_f64 v[56:57], v[54:55], v[14:15], -v[12:13]
	s_waitcnt vmcnt(0) lgkmcnt(21)
	v_mul_f64 v[12:13], v[96:97], v[18:19]
	v_fma_f64 v[126:127], v[94:95], v[16:17], v[12:13]
	v_mul_f64 v[12:13], v[96:97], v[16:17]
	s_clause 0x3
	buffer_load_dword v14, off, s[28:31], 0 offset:1016
	buffer_load_dword v15, off, s[28:31], 0 offset:1020
	;; [unrolled: 1-line block ×4, first 2 shown]
	v_fma_f64 v[18:19], v[94:95], v[18:19], -v[12:13]
	s_waitcnt vmcnt(0) lgkmcnt(19)
	v_mul_f64 v[12:13], v[16:17], v[22:23]
	v_fma_f64 v[128:129], v[14:15], v[20:21], v[12:13]
	v_mul_f64 v[12:13], v[16:17], v[20:21]
	v_fma_f64 v[130:131], v[14:15], v[22:23], -v[12:13]
	s_clause 0x3
	buffer_load_dword v14, off, s[28:31], 0 offset:1080
	buffer_load_dword v15, off, s[28:31], 0 offset:1084
	;; [unrolled: 1-line block ×4, first 2 shown]
	s_waitcnt vmcnt(0) lgkmcnt(18)
	v_mul_f64 v[12:13], v[16:17], v[26:27]
	v_fma_f64 v[132:133], v[14:15], v[24:25], v[12:13]
	v_mul_f64 v[12:13], v[16:17], v[24:25]
	v_add_f64 v[24:25], v[52:53], -v[126:127]
	v_fma_f64 v[134:135], v[14:15], v[26:27], -v[12:13]
	s_clause 0x3
	buffer_load_dword v14, off, s[28:31], 0 offset:1032
	buffer_load_dword v15, off, s[28:31], 0 offset:1036
	;; [unrolled: 1-line block ×4, first 2 shown]
	v_add_f64 v[26:27], v[128:129], v[132:133]
	v_fma_f64 v[26:27], v[26:27], -0.5, v[76:77]
	s_waitcnt vmcnt(0) lgkmcnt(16)
	v_mul_f64 v[12:13], v[16:17], v[30:31]
	v_fma_f64 v[136:137], v[14:15], v[28:29], v[12:13]
	v_mul_f64 v[12:13], v[16:17], v[28:29]
	v_add_f64 v[28:29], v[130:131], -v[134:135]
	v_fma_f64 v[138:139], v[14:15], v[30:31], -v[12:13]
	s_clause 0x3
	buffer_load_dword v14, off, s[28:31], 0 offset:1064
	buffer_load_dword v15, off, s[28:31], 0 offset:1068
	;; [unrolled: 1-line block ×4, first 2 shown]
	v_add_f64 v[30:31], v[130:131], v[134:135]
	v_fma_f64 v[30:31], v[30:31], -0.5, v[78:79]
	s_waitcnt vmcnt(0) lgkmcnt(15)
	v_mul_f64 v[12:13], v[16:17], v[34:35]
	v_fma_f64 v[140:141], v[14:15], v[32:33], v[12:13]
	v_mul_f64 v[12:13], v[16:17], v[32:33]
	v_fma_f64 v[32:33], v[28:29], s[0:1], v[26:27]
	v_fma_f64 v[28:29], v[28:29], s[4:5], v[26:27]
	v_add_f64 v[26:27], v[78:79], v[130:131]
	v_fma_f64 v[142:143], v[14:15], v[34:35], -v[12:13]
	s_clause 0x3
	buffer_load_dword v14, off, s[28:31], 0 offset:1120
	buffer_load_dword v15, off, s[28:31], 0 offset:1124
	;; [unrolled: 1-line block ×4, first 2 shown]
	v_add_f64 v[26:27], v[26:27], v[134:135]
	s_waitcnt vmcnt(0) lgkmcnt(13)
	v_mul_f64 v[12:13], v[16:17], v[38:39]
	v_fma_f64 v[54:55], v[14:15], v[36:37], v[12:13]
	v_mul_f64 v[12:13], v[16:17], v[36:37]
	v_add_f64 v[36:37], v[128:129], -v[132:133]
	v_fma_f64 v[144:145], v[14:15], v[38:39], -v[12:13]
	s_clause 0x3
	buffer_load_dword v14, off, s[28:31], 0 offset:1104
	buffer_load_dword v15, off, s[28:31], 0 offset:1108
	;; [unrolled: 1-line block ×4, first 2 shown]
	v_add_f64 v[38:39], v[136:137], v[140:141]
	v_fma_f64 v[34:35], v[36:37], s[4:5], v[30:31]
	v_fma_f64 v[30:31], v[36:37], s[0:1], v[30:31]
	v_add_f64 v[36:37], v[72:73], v[136:137]
	v_fma_f64 v[38:39], v[38:39], -0.5, v[72:73]
	v_add_f64 v[36:37], v[36:37], v[140:141]
	s_waitcnt vmcnt(0) lgkmcnt(12)
	v_mul_f64 v[12:13], v[16:17], v[42:43]
	v_fma_f64 v[58:59], v[14:15], v[40:41], v[12:13]
	v_mul_f64 v[12:13], v[16:17], v[40:41]
	v_add_f64 v[40:41], v[138:139], -v[142:143]
	v_fma_f64 v[146:147], v[14:15], v[42:43], -v[12:13]
	s_clause 0x3
	buffer_load_dword v14, off, s[28:31], 0 offset:1144
	buffer_load_dword v15, off, s[28:31], 0 offset:1148
	;; [unrolled: 1-line block ×4, first 2 shown]
	v_add_f64 v[42:43], v[138:139], v[142:143]
	v_fma_f64 v[42:43], v[42:43], -0.5, v[74:75]
	s_waitcnt vmcnt(0) lgkmcnt(10)
	v_mul_f64 v[12:13], v[16:17], v[46:47]
	v_fma_f64 v[104:105], v[14:15], v[44:45], v[12:13]
	v_mul_f64 v[12:13], v[16:17], v[44:45]
	v_fma_f64 v[44:45], v[40:41], s[0:1], v[38:39]
	v_fma_f64 v[40:41], v[40:41], s[4:5], v[38:39]
	v_add_f64 v[38:39], v[74:75], v[138:139]
	v_fma_f64 v[106:107], v[14:15], v[46:47], -v[12:13]
	s_clause 0x3
	buffer_load_dword v14, off, s[28:31], 0 offset:1164
	buffer_load_dword v15, off, s[28:31], 0 offset:1168
	buffer_load_dword v16, off, s[28:31], 0 offset:1172
	buffer_load_dword v17, off, s[28:31], 0 offset:1176
	v_add_f64 v[38:39], v[38:39], v[142:143]
	s_waitcnt vmcnt(0) lgkmcnt(9)
	v_mul_f64 v[12:13], v[16:17], v[50:51]
	v_fma_f64 v[108:109], v[14:15], v[48:49], v[12:13]
	v_mul_f64 v[12:13], v[16:17], v[48:49]
	v_add_f64 v[48:49], v[136:137], -v[140:141]
	v_fma_f64 v[110:111], v[14:15], v[50:51], -v[12:13]
	s_clause 0x3
	buffer_load_dword v14, off, s[28:31], 0 offset:1188
	buffer_load_dword v15, off, s[28:31], 0 offset:1192
	;; [unrolled: 1-line block ×4, first 2 shown]
	v_add_f64 v[50:51], v[54:55], v[58:59]
	v_fma_f64 v[46:47], v[48:49], s[4:5], v[42:43]
	v_fma_f64 v[42:43], v[48:49], s[0:1], v[42:43]
	v_add_f64 v[48:49], v[68:69], v[54:55]
	v_add_f64 v[54:55], v[54:55], -v[58:59]
	v_add_f64 v[74:75], v[106:107], v[110:111]
	v_add_f64 v[72:73], v[106:107], -v[110:111]
	v_fma_f64 v[50:51], v[50:51], -0.5, v[68:69]
	v_add_f64 v[68:69], v[144:145], v[146:147]
	v_add_f64 v[48:49], v[48:49], v[58:59]
	v_fma_f64 v[74:75], v[74:75], -0.5, v[10:11]
	v_fma_f64 v[68:69], v[68:69], -0.5, v[70:71]
	v_fma_f64 v[58:59], v[54:55], s[4:5], v[68:69]
	v_fma_f64 v[54:55], v[54:55], s[0:1], v[68:69]
	v_add_f64 v[68:69], v[8:9], v[104:105]
	v_add_f64 v[68:69], v[68:69], v[108:109]
	s_waitcnt vmcnt(0) lgkmcnt(7)
	v_mul_f64 v[12:13], v[16:17], v[62:63]
	v_fma_f64 v[96:97], v[14:15], v[60:61], v[12:13]
	v_mul_f64 v[12:13], v[16:17], v[60:61]
	v_fma_f64 v[98:99], v[14:15], v[62:63], -v[12:13]
	s_clause 0x3
	buffer_load_dword v14, off, s[28:31], 0 offset:1208
	buffer_load_dword v15, off, s[28:31], 0 offset:1212
	buffer_load_dword v16, off, s[28:31], 0 offset:1216
	buffer_load_dword v17, off, s[28:31], 0 offset:1220
	s_waitcnt vmcnt(0) lgkmcnt(6)
	v_mul_f64 v[12:13], v[16:17], v[86:87]
	v_fma_f64 v[100:101], v[14:15], v[84:85], v[12:13]
	v_mul_f64 v[12:13], v[16:17], v[84:85]
	v_add_f64 v[78:79], v[96:97], v[100:101]
	v_fma_f64 v[102:103], v[14:15], v[86:87], -v[12:13]
	s_clause 0x3
	buffer_load_dword v14, off, s[28:31], 0 offset:1224
	buffer_load_dword v15, off, s[28:31], 0 offset:1228
	;; [unrolled: 1-line block ×4, first 2 shown]
	v_fma_f64 v[78:79], v[78:79], -0.5, v[4:5]
	s_waitcnt vmcnt(0) lgkmcnt(4)
	v_mul_f64 v[12:13], v[16:17], v[92:93]
	v_fma_f64 v[88:89], v[14:15], v[90:91], v[12:13]
	v_mul_f64 v[12:13], v[16:17], v[90:91]
	v_fma_f64 v[90:91], v[14:15], v[92:93], -v[12:13]
	s_clause 0x3
	buffer_load_dword v14, off, s[28:31], 0 offset:1240
	buffer_load_dword v15, off, s[28:31], 0 offset:1244
	buffer_load_dword v16, off, s[28:31], 0 offset:1248
	buffer_load_dword v17, off, s[28:31], 0 offset:1252
	s_waitcnt vmcnt(0) lgkmcnt(3)
	v_mul_f64 v[12:13], v[16:17], v[116:117]
	v_fma_f64 v[92:93], v[14:15], v[114:115], v[12:13]
	v_mul_f64 v[12:13], v[16:17], v[114:115]
	v_fma_f64 v[94:95], v[14:15], v[116:117], -v[12:13]
	s_clause 0x3
	buffer_load_dword v14, off, s[28:31], 0 offset:1256
	buffer_load_dword v15, off, s[28:31], 0 offset:1260
	buffer_load_dword v16, off, s[28:31], 0 offset:1264
	buffer_load_dword v17, off, s[28:31], 0 offset:1268
	;; [unrolled: 10-line block ×3, first 2 shown]
	s_waitcnt vmcnt(0) lgkmcnt(0)
	s_barrier
	buffer_gl0_inv
	v_mul_f64 v[12:13], v[16:17], v[124:125]
	v_fma_f64 v[62:63], v[14:15], v[122:123], v[12:13]
	v_mul_f64 v[12:13], v[16:17], v[122:123]
	v_add_f64 v[16:17], v[56:57], -v[18:19]
	v_fma_f64 v[86:87], v[14:15], v[124:125], -v[12:13]
	v_add_f64 v[14:15], v[52:53], v[126:127]
	v_add_f64 v[12:13], v[80:81], v[52:53]
	v_add_f64 v[52:53], v[144:145], -v[146:147]
	v_fma_f64 v[14:15], v[14:15], -0.5, v[80:81]
	v_add_f64 v[80:81], v[98:99], -v[102:103]
	v_add_f64 v[12:13], v[12:13], v[126:127]
	v_fma_f64 v[20:21], v[16:17], s[0:1], v[14:15]
	v_fma_f64 v[16:17], v[16:17], s[4:5], v[14:15]
	v_add_f64 v[14:15], v[82:83], v[56:57]
	v_add_f64 v[14:15], v[14:15], v[18:19]
	;; [unrolled: 1-line block ×3, first 2 shown]
	v_fma_f64 v[56:57], v[52:53], s[0:1], v[50:51]
	v_fma_f64 v[52:53], v[52:53], s[4:5], v[50:51]
	v_add_f64 v[50:51], v[70:71], v[144:145]
	v_add_f64 v[70:71], v[104:105], v[108:109]
	v_fma_f64 v[18:19], v[18:19], -0.5, v[82:83]
	v_add_f64 v[82:83], v[98:99], v[102:103]
	v_add_f64 v[50:51], v[50:51], v[146:147]
	v_fma_f64 v[70:71], v[70:71], -0.5, v[8:9]
	v_fma_f64 v[22:23], v[24:25], s[4:5], v[18:19]
	v_fma_f64 v[18:19], v[24:25], s[0:1], v[18:19]
	v_add_f64 v[24:25], v[76:77], v[128:129]
	v_add_f64 v[76:77], v[104:105], -v[108:109]
	v_fma_f64 v[8:9], v[72:73], s[0:1], v[70:71]
	v_fma_f64 v[72:73], v[72:73], s[4:5], v[70:71]
	v_add_f64 v[70:71], v[10:11], v[106:107]
	v_fma_f64 v[82:83], v[82:83], -0.5, v[6:7]
	v_add_f64 v[24:25], v[24:25], v[132:133]
	v_fma_f64 v[10:11], v[76:77], s[4:5], v[74:75]
	v_fma_f64 v[74:75], v[76:77], s[0:1], v[74:75]
	v_add_f64 v[76:77], v[4:5], v[96:97]
	v_fma_f64 v[4:5], v[80:81], s[0:1], v[78:79]
	v_fma_f64 v[80:81], v[80:81], s[4:5], v[78:79]
	v_add_f64 v[78:79], v[6:7], v[98:99]
	v_add_f64 v[98:99], v[88:89], v[92:93]
	v_add_f64 v[96:97], v[96:97], -v[100:101]
	v_add_f64 v[70:71], v[70:71], v[110:111]
	v_add_f64 v[76:77], v[76:77], v[100:101]
	v_add_f64 v[100:101], v[90:91], -v[94:95]
	v_add_f64 v[78:79], v[78:79], v[102:103]
	v_fma_f64 v[98:99], v[98:99], -0.5, v[0:1]
	v_fma_f64 v[6:7], v[96:97], s[4:5], v[82:83]
	v_fma_f64 v[82:83], v[96:97], s[0:1], v[82:83]
	v_add_f64 v[96:97], v[0:1], v[88:89]
	v_add_f64 v[88:89], v[88:89], -v[92:93]
	v_fma_f64 v[0:1], v[100:101], s[0:1], v[98:99]
	v_fma_f64 v[100:101], v[100:101], s[4:5], v[98:99]
	v_add_f64 v[98:99], v[2:3], v[90:91]
	v_add_f64 v[90:91], v[90:91], v[94:95]
	;; [unrolled: 1-line block ×3, first 2 shown]
	v_add_f64 v[92:93], v[84:85], -v[86:87]
	v_add_f64 v[98:99], v[98:99], v[94:95]
	v_fma_f64 v[90:91], v[90:91], -0.5, v[2:3]
	v_fma_f64 v[2:3], v[88:89], s[4:5], v[90:91]
	v_fma_f64 v[102:103], v[88:89], s[0:1], v[90:91]
	v_add_f64 v[90:91], v[60:61], v[62:63]
	v_add_f64 v[88:89], v[64:65], v[60:61]
	v_add_f64 v[60:61], v[60:61], -v[62:63]
	v_fma_f64 v[90:91], v[90:91], -0.5, v[64:65]
	v_add_f64 v[88:89], v[88:89], v[62:63]
	v_fma_f64 v[64:65], v[92:93], s[0:1], v[90:91]
	v_fma_f64 v[92:93], v[92:93], s[4:5], v[90:91]
	v_add_f64 v[90:91], v[66:67], v[84:85]
	v_add_f64 v[84:85], v[84:85], v[86:87]
	;; [unrolled: 1-line block ×3, first 2 shown]
	v_fma_f64 v[84:85], v[84:85], -0.5, v[66:67]
	v_fma_f64 v[66:67], v[60:61], s[4:5], v[84:85]
	v_fma_f64 v[94:95], v[60:61], s[0:1], v[84:85]
	buffer_load_dword v60, off, s[28:31], 0 offset:740 ; 4-byte Folded Reload
	s_waitcnt vmcnt(0)
	ds_write_b128 v60, v[12:15]
	ds_write_b128 v60, v[20:23] offset:384
	ds_write_b128 v60, v[16:19] offset:768
	buffer_load_dword v12, off, s[28:31], 0 offset:776 ; 4-byte Folded Reload
	s_waitcnt vmcnt(0)
	ds_write_b128 v12, v[24:27]
	ds_write_b128 v12, v[32:35] offset:384
	ds_write_b128 v12, v[28:31] offset:768
	;; [unrolled: 5-line block ×8, first 2 shown]
	s_waitcnt lgkmcnt(0)
	s_barrier
	buffer_gl0_inv
	ds_read_b128 v[24:27], v112
	ds_read_b128 v[12:15], v112 offset:8064
	ds_read_b128 v[28:31], v112 offset:16128
	;; [unrolled: 1-line block ×23, first 2 shown]
	s_clause 0x3
	buffer_load_dword v80, off, s[28:31], 0 offset:724
	buffer_load_dword v81, off, s[28:31], 0 offset:728
	;; [unrolled: 1-line block ×4, first 2 shown]
	s_waitcnt vmcnt(0) lgkmcnt(22)
	v_mul_f64 v[60:61], v[82:83], v[14:15]
	v_fma_f64 v[60:61], v[80:81], v[12:13], v[60:61]
	v_mul_f64 v[12:13], v[82:83], v[12:13]
	v_fma_f64 v[110:111], v[80:81], v[14:15], -v[12:13]
	s_clause 0x3
	buffer_load_dword v80, off, s[28:31], 0 offset:708
	buffer_load_dword v81, off, s[28:31], 0 offset:712
	buffer_load_dword v82, off, s[28:31], 0 offset:716
	buffer_load_dword v83, off, s[28:31], 0 offset:720
	s_waitcnt vmcnt(0) lgkmcnt(21)
	v_mul_f64 v[12:13], v[82:83], v[30:31]
	v_fma_f64 v[122:123], v[80:81], v[28:29], v[12:13]
	v_mul_f64 v[12:13], v[82:83], v[28:29]
	v_add_f64 v[14:15], v[60:61], v[122:123]
	v_fma_f64 v[30:31], v[80:81], v[30:31], -v[12:13]
	s_clause 0x3
	buffer_load_dword v80, off, s[28:31], 0 offset:744
	buffer_load_dword v81, off, s[28:31], 0 offset:748
	;; [unrolled: 1-line block ×4, first 2 shown]
	v_fma_f64 v[14:15], v[14:15], -0.5, v[24:25]
	s_waitcnt vmcnt(0) lgkmcnt(19)
	v_mul_f64 v[12:13], v[82:83], v[34:35]
	v_fma_f64 v[124:125], v[80:81], v[32:33], v[12:13]
	v_mul_f64 v[12:13], v[82:83], v[32:33]
	v_fma_f64 v[126:127], v[80:81], v[34:35], -v[12:13]
	s_clause 0x3
	buffer_load_dword v32, off, s[28:31], 0 offset:760
	buffer_load_dword v33, off, s[28:31], 0 offset:764
	;; [unrolled: 1-line block ×4, first 2 shown]
	s_waitcnt vmcnt(0) lgkmcnt(18)
	v_mul_f64 v[12:13], v[34:35], v[42:43]
	v_fma_f64 v[128:129], v[32:33], v[40:41], v[12:13]
	v_mul_f64 v[12:13], v[34:35], v[40:41]
	v_fma_f64 v[42:43], v[32:33], v[42:43], -v[12:13]
	s_clause 0x3
	buffer_load_dword v32, off, s[28:31], 0 offset:788
	buffer_load_dword v33, off, s[28:31], 0 offset:792
	;; [unrolled: 1-line block ×4, first 2 shown]
	s_waitcnt vmcnt(0) lgkmcnt(16)
	v_mul_f64 v[12:13], v[34:35], v[50:51]
	v_fma_f64 v[130:131], v[32:33], v[48:49], v[12:13]
	v_mul_f64 v[12:13], v[34:35], v[48:49]
	v_add_f64 v[48:49], v[124:125], -v[128:129]
	v_fma_f64 v[132:133], v[32:33], v[50:51], -v[12:13]
	s_clause 0x3
	buffer_load_dword v32, off, s[28:31], 0 offset:808
	buffer_load_dword v33, off, s[28:31], 0 offset:812
	buffer_load_dword v34, off, s[28:31], 0 offset:816
	buffer_load_dword v35, off, s[28:31], 0 offset:820
	s_waitcnt vmcnt(0) lgkmcnt(15)
	v_mul_f64 v[12:13], v[34:35], v[54:55]
	v_fma_f64 v[134:135], v[32:33], v[52:53], v[12:13]
	v_mul_f64 v[12:13], v[34:35], v[52:53]
	v_add_f64 v[50:51], v[130:131], v[134:135]
	v_fma_f64 v[54:55], v[32:33], v[54:55], -v[12:13]
	s_clause 0x3
	buffer_load_dword v32, off, s[28:31], 0 offset:836
	buffer_load_dword v33, off, s[28:31], 0 offset:840
	;; [unrolled: 1-line block ×4, first 2 shown]
	s_waitcnt vmcnt(0) lgkmcnt(13)
	v_mul_f64 v[12:13], v[34:35], v[58:59]
	v_fma_f64 v[62:63], v[32:33], v[56:57], v[12:13]
	v_mul_f64 v[12:13], v[34:35], v[56:57]
	v_add_f64 v[56:57], v[130:131], -v[134:135]
	v_fma_f64 v[136:137], v[32:33], v[58:59], -v[12:13]
	s_clause 0x3
	buffer_load_dword v32, off, s[28:31], 0 offset:852
	buffer_load_dword v33, off, s[28:31], 0 offset:856
	;; [unrolled: 1-line block ×4, first 2 shown]
	s_waitcnt vmcnt(0) lgkmcnt(12)
	v_mul_f64 v[12:13], v[34:35], v[66:67]
	v_fma_f64 v[96:97], v[32:33], v[64:65], v[12:13]
	v_mul_f64 v[12:13], v[34:35], v[64:65]
	v_add_f64 v[58:59], v[62:63], v[96:97]
	v_fma_f64 v[138:139], v[32:33], v[66:67], -v[12:13]
	s_clause 0x3
	buffer_load_dword v32, off, s[28:31], 0 offset:868
	buffer_load_dword v33, off, s[28:31], 0 offset:872
	buffer_load_dword v34, off, s[28:31], 0 offset:876
	buffer_load_dword v35, off, s[28:31], 0 offset:880
	s_waitcnt vmcnt(0) lgkmcnt(10)
	v_mul_f64 v[12:13], v[34:35], v[70:71]
	v_fma_f64 v[88:89], v[32:33], v[68:69], v[12:13]
	v_mul_f64 v[12:13], v[34:35], v[68:69]
	v_fma_f64 v[90:91], v[32:33], v[70:71], -v[12:13]
	s_clause 0x3
	buffer_load_dword v32, off, s[28:31], 0 offset:884
	buffer_load_dword v33, off, s[28:31], 0 offset:888
	buffer_load_dword v34, off, s[28:31], 0 offset:892
	buffer_load_dword v35, off, s[28:31], 0 offset:896
	s_waitcnt vmcnt(0) lgkmcnt(9)
	v_mul_f64 v[12:13], v[34:35], v[74:75]
	v_fma_f64 v[92:93], v[32:33], v[72:73], v[12:13]
	v_mul_f64 v[12:13], v[34:35], v[72:73]
	;; [unrolled: 10-line block ×4, first 2 shown]
	v_add_f64 v[98:99], v[136:137], v[138:139]
	v_fma_f64 v[86:87], v[32:33], v[100:101], -v[12:13]
	s_clause 0x3
	buffer_load_dword v32, off, s[28:31], 0 offset:932
	buffer_load_dword v33, off, s[28:31], 0 offset:936
	;; [unrolled: 1-line block ×4, first 2 shown]
	v_add_f64 v[100:101], v[90:91], -v[94:95]
	s_waitcnt vmcnt(0) lgkmcnt(4)
	v_mul_f64 v[12:13], v[34:35], v[104:105]
	v_fma_f64 v[72:73], v[32:33], v[102:103], v[12:13]
	v_mul_f64 v[12:13], v[34:35], v[102:103]
	v_fma_f64 v[74:75], v[32:33], v[104:105], -v[12:13]
	s_clause 0x3
	buffer_load_dword v32, off, s[28:31], 0 offset:948
	buffer_load_dword v33, off, s[28:31], 0 offset:952
	buffer_load_dword v34, off, s[28:31], 0 offset:956
	buffer_load_dword v35, off, s[28:31], 0 offset:960
	s_waitcnt vmcnt(0) lgkmcnt(3)
	v_mul_f64 v[12:13], v[34:35], v[108:109]
	v_fma_f64 v[76:77], v[32:33], v[106:107], v[12:13]
	v_mul_f64 v[12:13], v[34:35], v[106:107]
	v_fma_f64 v[78:79], v[32:33], v[108:109], -v[12:13]
	s_clause 0x3
	buffer_load_dword v32, off, s[28:31], 0 offset:964
	buffer_load_dword v33, off, s[28:31], 0 offset:968
	buffer_load_dword v34, off, s[28:31], 0 offset:972
	buffer_load_dword v35, off, s[28:31], 0 offset:976
	;; [unrolled: 10-line block ×3, first 2 shown]
	s_waitcnt vmcnt(0) lgkmcnt(0)
	s_barrier
	buffer_gl0_inv
	v_mul_f64 v[12:13], v[34:35], v[120:121]
	v_fma_f64 v[66:67], v[32:33], v[118:119], v[12:13]
	v_mul_f64 v[12:13], v[34:35], v[118:119]
	v_add_f64 v[34:35], v[124:125], v[128:129]
	v_fma_f64 v[70:71], v[32:33], v[120:121], -v[12:13]
	v_add_f64 v[12:13], v[24:25], v[60:61]
	v_add_f64 v[24:25], v[110:111], -v[30:31]
	v_add_f64 v[32:33], v[60:61], -v[122:123]
	v_fma_f64 v[34:35], v[34:35], -0.5, v[36:37]
	v_add_f64 v[12:13], v[12:13], v[122:123]
	v_fma_f64 v[28:29], v[24:25], s[0:1], v[14:15]
	v_fma_f64 v[24:25], v[24:25], s[4:5], v[14:15]
	v_add_f64 v[14:15], v[26:27], v[110:111]
	v_add_f64 v[14:15], v[14:15], v[30:31]
	;; [unrolled: 1-line block ×3, first 2 shown]
	v_fma_f64 v[26:27], v[30:31], -0.5, v[26:27]
	v_fma_f64 v[30:31], v[32:33], s[4:5], v[26:27]
	v_fma_f64 v[26:27], v[32:33], s[0:1], v[26:27]
	ds_write_b128 v112, v[12:15]
	ds_write_b128 v112, v[28:31] offset:1152
	ds_write_b128 v112, v[24:27] offset:2304
	buffer_load_dword v12, off, s[28:31], 0 offset:392 ; 4-byte Folded Reload
	v_add_f64 v[32:33], v[36:37], v[124:125]
	v_add_f64 v[36:37], v[126:127], -v[42:43]
	v_add_f64 v[32:33], v[32:33], v[128:129]
	v_fma_f64 v[40:41], v[36:37], s[0:1], v[34:35]
	v_fma_f64 v[36:37], v[36:37], s[4:5], v[34:35]
	v_add_f64 v[34:35], v[38:39], v[126:127]
	v_add_f64 v[34:35], v[34:35], v[42:43]
	;; [unrolled: 1-line block ×3, first 2 shown]
	v_fma_f64 v[38:39], v[42:43], -0.5, v[38:39]
	v_fma_f64 v[42:43], v[48:49], s[4:5], v[38:39]
	v_fma_f64 v[38:39], v[48:49], s[0:1], v[38:39]
	s_waitcnt vmcnt(0)
	ds_write_b128 v12, v[32:35]
	ds_write_b128 v12, v[40:43] offset:1152
	ds_write_b128 v12, v[36:39] offset:2304
	buffer_load_dword v12, off, s[28:31], 0 offset:396 ; 4-byte Folded Reload
	v_add_f64 v[48:49], v[44:45], v[130:131]
	v_fma_f64 v[44:45], v[50:51], -0.5, v[44:45]
	v_add_f64 v[50:51], v[132:133], -v[54:55]
	v_add_f64 v[48:49], v[48:49], v[134:135]
	v_fma_f64 v[52:53], v[50:51], s[0:1], v[44:45]
	v_fma_f64 v[44:45], v[50:51], s[4:5], v[44:45]
	v_add_f64 v[50:51], v[46:47], v[132:133]
	v_add_f64 v[50:51], v[50:51], v[54:55]
	;; [unrolled: 1-line block ×3, first 2 shown]
	v_fma_f64 v[46:47], v[54:55], -0.5, v[46:47]
	v_fma_f64 v[54:55], v[56:57], s[4:5], v[46:47]
	v_fma_f64 v[46:47], v[56:57], s[0:1], v[46:47]
	s_waitcnt vmcnt(0)
	ds_write_b128 v12, v[48:51]
	ds_write_b128 v12, v[52:55] offset:1152
	ds_write_b128 v12, v[44:47] offset:2304
	buffer_load_dword v12, off, s[28:31], 0 offset:400 ; 4-byte Folded Reload
	v_add_f64 v[56:57], v[20:21], v[62:63]
	v_fma_f64 v[20:21], v[58:59], -0.5, v[20:21]
	v_add_f64 v[58:59], v[136:137], -v[138:139]
	v_add_f64 v[56:57], v[56:57], v[96:97]
	v_add_f64 v[96:97], v[62:63], -v[96:97]
	v_fma_f64 v[60:61], v[58:59], s[0:1], v[20:21]
	v_fma_f64 v[20:21], v[58:59], s[4:5], v[20:21]
	v_add_f64 v[58:59], v[22:23], v[136:137]
	v_fma_f64 v[22:23], v[98:99], -0.5, v[22:23]
	v_add_f64 v[98:99], v[88:89], v[92:93]
	v_add_f64 v[58:59], v[58:59], v[138:139]
	v_fma_f64 v[62:63], v[96:97], s[4:5], v[22:23]
	v_fma_f64 v[22:23], v[96:97], s[0:1], v[22:23]
	v_fma_f64 v[98:99], v[98:99], -0.5, v[16:17]
	v_add_f64 v[96:97], v[16:17], v[88:89]
	v_add_f64 v[88:89], v[88:89], -v[92:93]
	s_waitcnt vmcnt(0)
	ds_write_b128 v12, v[56:59]
	ds_write_b128 v12, v[60:63] offset:1152
	ds_write_b128 v12, v[20:23] offset:2304
	buffer_load_dword v12, off, s[28:31], 0 offset:404 ; 4-byte Folded Reload
	v_fma_f64 v[16:17], v[100:101], s[0:1], v[98:99]
	v_fma_f64 v[100:101], v[100:101], s[4:5], v[98:99]
	v_add_f64 v[98:99], v[18:19], v[90:91]
	v_add_f64 v[90:91], v[90:91], v[94:95]
	;; [unrolled: 1-line block ×4, first 2 shown]
	v_fma_f64 v[90:91], v[90:91], -0.5, v[18:19]
	v_fma_f64 v[18:19], v[88:89], s[4:5], v[90:91]
	v_fma_f64 v[102:103], v[88:89], s[0:1], v[90:91]
	v_add_f64 v[90:91], v[80:81], v[84:85]
	v_add_f64 v[88:89], v[8:9], v[80:81]
	s_waitcnt vmcnt(0)
	ds_write_b128 v12, v[96:99]
	ds_write_b128 v12, v[16:19] offset:1152
	ds_write_b128 v12, v[100:103] offset:2304
	buffer_load_dword v12, off, s[28:31], 0 offset:408 ; 4-byte Folded Reload
	v_fma_f64 v[8:9], v[90:91], -0.5, v[8:9]
	v_add_f64 v[90:91], v[82:83], -v[86:87]
	v_add_f64 v[88:89], v[88:89], v[84:85]
	v_fma_f64 v[92:93], v[90:91], s[0:1], v[8:9]
	v_fma_f64 v[104:105], v[90:91], s[4:5], v[8:9]
	v_add_f64 v[8:9], v[10:11], v[82:83]
	v_add_f64 v[90:91], v[8:9], v[86:87]
	;; [unrolled: 1-line block ×3, first 2 shown]
	v_fma_f64 v[8:9], v[8:9], -0.5, v[10:11]
	v_add_f64 v[10:11], v[80:81], -v[84:85]
	v_fma_f64 v[94:95], v[10:11], s[4:5], v[8:9]
	v_fma_f64 v[106:107], v[10:11], s[0:1], v[8:9]
	s_waitcnt vmcnt(0)
	ds_write_b128 v12, v[88:91]
	ds_write_b128 v12, v[92:95] offset:1152
	ds_write_b128 v12, v[104:107] offset:2304
	buffer_load_dword v12, off, s[28:31], 0 offset:428 ; 4-byte Folded Reload
	v_add_f64 v[8:9], v[0:1], v[72:73]
	v_add_f64 v[10:11], v[68:69], v[70:71]
	;; [unrolled: 1-line block ×4, first 2 shown]
	v_fma_f64 v[10:11], v[10:11], -0.5, v[6:7]
	v_fma_f64 v[0:1], v[8:9], -0.5, v[0:1]
	v_add_f64 v[8:9], v[74:75], -v[78:79]
	v_fma_f64 v[84:85], v[8:9], s[0:1], v[0:1]
	v_fma_f64 v[108:109], v[8:9], s[4:5], v[0:1]
	v_add_f64 v[0:1], v[2:3], v[74:75]
	v_add_f64 v[8:9], v[68:69], -v[70:71]
	v_add_f64 v[82:83], v[0:1], v[78:79]
	v_add_f64 v[0:1], v[74:75], v[78:79]
	v_fma_f64 v[0:1], v[0:1], -0.5, v[2:3]
	v_add_f64 v[2:3], v[72:73], -v[76:77]
	v_fma_f64 v[86:87], v[2:3], s[4:5], v[0:1]
	v_fma_f64 v[110:111], v[2:3], s[0:1], v[0:1]
	s_waitcnt vmcnt(0)
	ds_write_b128 v12, v[80:83]
	ds_write_b128 v12, v[84:87] offset:1152
	ds_write_b128 v12, v[108:111] offset:2304
	buffer_load_dword v12, off, s[28:31], 0 offset:496 ; 4-byte Folded Reload
	v_add_f64 v[2:3], v[64:65], v[66:67]
	v_add_f64 v[0:1], v[4:5], v[64:65]
	v_add_f64 v[64:65], v[64:65], -v[66:67]
	v_fma_f64 v[2:3], v[2:3], -0.5, v[4:5]
	v_add_f64 v[0:1], v[0:1], v[66:67]
	v_fma_f64 v[4:5], v[8:9], s[0:1], v[2:3]
	v_fma_f64 v[8:9], v[8:9], s[4:5], v[2:3]
	v_add_f64 v[2:3], v[6:7], v[68:69]
	v_fma_f64 v[6:7], v[64:65], s[4:5], v[10:11]
	v_fma_f64 v[10:11], v[64:65], s[0:1], v[10:11]
	v_add_f64 v[2:3], v[2:3], v[70:71]
	s_waitcnt vmcnt(0)
	ds_write_b128 v12, v[0:3] offset:20736
	ds_write_b128 v12, v[4:7] offset:21888
	;; [unrolled: 1-line block ×3, first 2 shown]
	s_waitcnt lgkmcnt(0)
	s_barrier
	buffer_gl0_inv
	ds_read_b128 v[16:19], v112
	ds_read_b128 v[92:95], v112 offset:3456
	ds_read_b128 v[88:91], v112 offset:6912
	;; [unrolled: 1-line block ×20, first 2 shown]
	s_and_saveexec_b32 s0, vcc_lo
	s_cbranch_execz .LBB0_7
; %bb.6:
	ds_read_b128 v[0:3], v112 offset:3024
	ds_read_b128 v[4:7], v112 offset:6480
	;; [unrolled: 1-line block ×7, first 2 shown]
.LBB0_7:
	s_or_b32 exec_lo, exec_lo, s0
	s_clause 0x3
	buffer_load_dword v100, off, s[28:31], 0 offset:464
	buffer_load_dword v101, off, s[28:31], 0 offset:468
	;; [unrolled: 1-line block ×4, first 2 shown]
	s_mov_b32 s0, 0x37e14327
	s_mov_b32 s4, 0x36b3c0b5
	s_mov_b32 s14, 0xe976ee23
	s_mov_b32 s6, 0x429ad128
	s_mov_b32 s1, 0x3fe948f6
	s_mov_b32 s5, 0x3fac98ee
	s_mov_b32 s15, 0x3fe11646
	s_mov_b32 s7, 0xbfebfeb5
	s_mov_b32 s12, 0xaaaaaaaa
	s_mov_b32 s16, 0x5476071b
	s_mov_b32 s20, 0xb247c609
	s_mov_b32 s13, 0xbff2aaaa
	s_mov_b32 s17, 0x3fe77f67
	s_mov_b32 s19, 0xbfe77f67
	s_mov_b32 s18, s16
	s_mov_b32 s21, 0xbfd5d0dc
	s_mov_b32 s23, 0x3fd5d0dc
	s_mov_b32 s22, s20
	s_mov_b32 s24, 0x37c3f68c
	s_mov_b32 s25, 0xbfdc38aa
	s_waitcnt vmcnt(0) lgkmcnt(19)
	v_mul_f64 v[96:97], v[102:103], v[94:95]
	v_fma_f64 v[98:99], v[100:101], v[92:93], v[96:97]
	v_mul_f64 v[92:93], v[102:103], v[92:93]
	v_fma_f64 v[100:101], v[100:101], v[94:95], -v[92:93]
	s_clause 0x3
	buffer_load_dword v94, off, s[28:31], 0 offset:448
	buffer_load_dword v95, off, s[28:31], 0 offset:452
	buffer_load_dword v96, off, s[28:31], 0 offset:456
	buffer_load_dword v97, off, s[28:31], 0 offset:460
	s_waitcnt vmcnt(0) lgkmcnt(18)
	v_mul_f64 v[92:93], v[96:97], v[90:91]
	v_fma_f64 v[102:103], v[94:95], v[88:89], v[92:93]
	v_mul_f64 v[88:89], v[96:97], v[88:89]
	v_fma_f64 v[104:105], v[94:95], v[90:91], -v[88:89]
	s_clause 0x3
	buffer_load_dword v90, off, s[28:31], 0 offset:432
	buffer_load_dword v91, off, s[28:31], 0 offset:436
	buffer_load_dword v92, off, s[28:31], 0 offset:440
	buffer_load_dword v93, off, s[28:31], 0 offset:444
	;; [unrolled: 10-line block ×13, first 2 shown]
	v_add_f64 v[46:47], v[114:115], -v[108:109]
	s_waitcnt vmcnt(0) lgkmcnt(4)
	v_mul_f64 v[44:45], v[74:75], v[42:43]
	v_fma_f64 v[80:81], v[72:73], v[40:41], v[44:45]
	v_mul_f64 v[40:41], v[74:75], v[40:41]
	v_fma_f64 v[82:83], v[72:73], v[42:43], -v[40:41]
	s_clause 0x3
	buffer_load_dword v42, off, s[28:31], 0 offset:564
	buffer_load_dword v43, off, s[28:31], 0 offset:568
	;; [unrolled: 1-line block ×4, first 2 shown]
	s_waitcnt vmcnt(0) lgkmcnt(3)
	v_mul_f64 v[40:41], v[44:45], v[38:39]
	v_fma_f64 v[72:73], v[42:43], v[36:37], v[40:41]
	v_mul_f64 v[36:37], v[44:45], v[36:37]
	v_add_f64 v[44:45], v[110:111], -v[106:107]
	v_fma_f64 v[74:75], v[42:43], v[38:39], -v[36:37]
	s_clause 0x3
	buffer_load_dword v38, off, s[28:31], 0 offset:532
	buffer_load_dword v39, off, s[28:31], 0 offset:536
	;; [unrolled: 1-line block ×4, first 2 shown]
	v_add_f64 v[42:43], v[108:109], v[114:115]
	s_waitcnt vmcnt(0) lgkmcnt(2)
	v_mul_f64 v[36:37], v[40:41], v[34:35]
	v_fma_f64 v[76:77], v[38:39], v[32:33], v[36:37]
	v_mul_f64 v[32:33], v[40:41], v[32:33]
	v_add_f64 v[40:41], v[106:107], v[110:111]
	v_fma_f64 v[78:79], v[38:39], v[34:35], -v[32:33]
	s_clause 0x3
	buffer_load_dword v34, off, s[28:31], 0 offset:660
	buffer_load_dword v35, off, s[28:31], 0 offset:664
	;; [unrolled: 1-line block ×4, first 2 shown]
	v_add_f64 v[38:39], v[104:105], -v[118:119]
	v_add_f64 v[106:107], v[46:47], v[38:39]
	v_add_f64 v[110:111], v[46:47], -v[38:39]
	s_waitcnt vmcnt(0) lgkmcnt(1)
	v_mul_f64 v[32:33], v[36:37], v[30:31]
	v_fma_f64 v[88:89], v[34:35], v[28:29], v[32:33]
	v_mul_f64 v[28:29], v[36:37], v[28:29]
	v_add_f64 v[36:37], v[102:103], -v[116:117]
	v_fma_f64 v[90:91], v[34:35], v[30:31], -v[28:29]
	s_clause 0x3
	buffer_load_dword v30, off, s[28:31], 0 offset:644
	buffer_load_dword v31, off, s[28:31], 0 offset:648
	;; [unrolled: 1-line block ×4, first 2 shown]
	v_add_f64 v[34:35], v[104:105], v[118:119]
	v_add_f64 v[104:105], v[44:45], v[36:37]
	v_add_f64 v[108:109], v[44:45], -v[36:37]
	s_waitcnt vmcnt(0) lgkmcnt(0)
	v_mul_f64 v[28:29], v[32:33], v[26:27]
	v_fma_f64 v[92:93], v[30:31], v[24:25], v[28:29]
	v_mul_f64 v[24:25], v[32:33], v[24:25]
	v_add_f64 v[32:33], v[102:103], v[116:117]
	v_add_f64 v[28:29], v[98:99], -v[120:121]
	v_fma_f64 v[94:95], v[30:31], v[26:27], -v[24:25]
	v_add_f64 v[24:25], v[98:99], v[120:121]
	v_add_f64 v[26:27], v[100:101], v[122:123]
	v_add_f64 v[30:31], v[100:101], -v[122:123]
	v_add_f64 v[36:37], v[36:37], -v[28:29]
	;; [unrolled: 1-line block ×3, first 2 shown]
	v_add_f64 v[28:29], v[104:105], v[28:29]
	v_mul_f64 v[104:105], v[108:109], s[14:15]
	v_add_f64 v[50:51], v[32:33], v[24:25]
	v_add_f64 v[98:99], v[34:35], v[26:27]
	v_add_f64 v[100:101], v[32:33], -v[24:25]
	v_add_f64 v[102:103], v[34:35], -v[26:27]
	;; [unrolled: 1-line block ×8, first 2 shown]
	v_add_f64 v[30:31], v[106:107], v[30:31]
	v_mul_f64 v[106:107], v[110:111], s[14:15]
	v_mul_f64 v[108:109], v[36:37], s[6:7]
	v_fma_f64 v[36:37], v[36:37], s[6:7], -v[104:105]
	v_add_f64 v[40:41], v[40:41], v[50:51]
	v_add_f64 v[42:43], v[42:43], v[98:99]
	v_mul_f64 v[24:25], v[24:25], s[0:1]
	v_mul_f64 v[26:27], v[26:27], s[0:1]
	;; [unrolled: 1-line block ×5, first 2 shown]
	v_fma_f64 v[38:39], v[38:39], s[6:7], -v[106:107]
	v_add_f64 v[16:17], v[16:17], v[40:41]
	v_add_f64 v[18:19], v[18:19], v[42:43]
	v_fma_f64 v[32:33], v[32:33], s[4:5], v[24:25]
	v_fma_f64 v[34:35], v[34:35], s[4:5], v[26:27]
	v_fma_f64 v[50:51], v[100:101], s[16:17], -v[50:51]
	v_fma_f64 v[98:99], v[102:103], s[16:17], -v[98:99]
	;; [unrolled: 1-line block ×4, first 2 shown]
	v_fma_f64 v[100:101], v[44:45], s[20:21], v[104:105]
	v_fma_f64 v[102:103], v[46:47], s[20:21], v[106:107]
	v_fma_f64 v[44:45], v[44:45], s[22:23], -v[108:109]
	v_fma_f64 v[46:47], v[46:47], s[22:23], -v[110:111]
	v_fma_f64 v[40:41], v[40:41], s[12:13], v[16:17]
	v_fma_f64 v[42:43], v[42:43], s[12:13], v[18:19]
	;; [unrolled: 1-line block ×3, first 2 shown]
	v_add_f64 v[104:105], v[32:33], v[40:41]
	v_add_f64 v[106:107], v[34:35], v[42:43]
	;; [unrolled: 1-line block ×6, first 2 shown]
	v_fma_f64 v[50:51], v[28:29], s[24:25], v[100:101]
	v_fma_f64 v[98:99], v[30:31], s[24:25], v[102:103]
	;; [unrolled: 1-line block ×5, first 2 shown]
	v_add_f64 v[42:43], v[26:27], -v[108:109]
	v_add_f64 v[46:47], v[106:107], -v[50:51]
	v_add_f64 v[44:45], v[98:99], v[104:105]
	v_add_f64 v[30:31], v[108:109], v[26:27]
	;; [unrolled: 1-line block ×3, first 2 shown]
	v_add_f64 v[28:29], v[24:25], -v[28:29]
	v_add_f64 v[24:25], v[104:105], -v[98:99]
	v_add_f64 v[26:27], v[50:51], v[106:107]
	v_add_f64 v[50:51], v[70:71], v[54:55]
	;; [unrolled: 1-line block ×3, first 2 shown]
	v_add_f64 v[54:55], v[70:71], -v[54:55]
	v_add_f64 v[48:49], v[96:97], -v[48:49]
	v_add_f64 v[70:71], v[68:69], v[58:59]
	v_add_f64 v[96:97], v[66:67], v[52:53]
	v_add_f64 v[58:59], v[68:69], -v[58:59]
	v_add_f64 v[52:53], v[66:67], -v[52:53]
	v_add_f64 v[66:67], v[64:65], v[62:63]
	v_add_f64 v[68:69], v[60:61], v[56:57]
	v_add_f64 v[62:63], v[62:63], -v[64:65]
	v_add_f64 v[56:57], v[56:57], -v[60:61]
	;; [unrolled: 1-line block ×3, first 2 shown]
	v_add_f64 v[38:39], v[100:101], v[34:35]
	v_add_f64 v[32:33], v[102:103], v[32:33]
	v_add_f64 v[34:35], v[34:35], -v[100:101]
	v_add_f64 v[60:61], v[70:71], v[50:51]
	v_add_f64 v[64:65], v[96:97], v[98:99]
	v_add_f64 v[100:101], v[70:71], -v[50:51]
	v_add_f64 v[102:103], v[96:97], -v[98:99]
	;; [unrolled: 1-line block ×6, first 2 shown]
	v_add_f64 v[104:105], v[62:63], v[58:59]
	v_add_f64 v[106:107], v[56:57], v[52:53]
	v_add_f64 v[108:109], v[62:63], -v[58:59]
	v_add_f64 v[110:111], v[56:57], -v[52:53]
	;; [unrolled: 1-line block ×6, first 2 shown]
	v_add_f64 v[60:61], v[66:67], v[60:61]
	v_add_f64 v[64:65], v[68:69], v[64:65]
	v_mul_f64 v[50:51], v[50:51], s[0:1]
	v_mul_f64 v[66:67], v[98:99], s[0:1]
	;; [unrolled: 1-line block ×4, first 2 shown]
	v_add_f64 v[54:55], v[104:105], v[54:55]
	v_add_f64 v[48:49], v[106:107], v[48:49]
	v_mul_f64 v[104:105], v[108:109], s[14:15]
	v_mul_f64 v[106:107], v[110:111], s[14:15]
	;; [unrolled: 1-line block ×4, first 2 shown]
	v_add_f64 v[20:21], v[20:21], v[60:61]
	v_add_f64 v[22:23], v[22:23], v[64:65]
	v_fma_f64 v[70:71], v[70:71], s[4:5], v[50:51]
	v_fma_f64 v[96:97], v[96:97], s[4:5], v[66:67]
	v_fma_f64 v[68:69], v[100:101], s[16:17], -v[68:69]
	v_fma_f64 v[98:99], v[102:103], s[16:17], -v[98:99]
	;; [unrolled: 1-line block ×4, first 2 shown]
	v_fma_f64 v[100:101], v[62:63], s[20:21], v[104:105]
	v_fma_f64 v[102:103], v[56:57], s[20:21], v[106:107]
	v_fma_f64 v[58:59], v[58:59], s[6:7], -v[104:105]
	v_fma_f64 v[52:53], v[52:53], s[6:7], -v[106:107]
	;; [unrolled: 1-line block ×4, first 2 shown]
	v_fma_f64 v[60:61], v[60:61], s[12:13], v[20:21]
	v_fma_f64 v[64:65], v[64:65], s[12:13], v[22:23]
	;; [unrolled: 1-line block ×8, first 2 shown]
	v_add_f64 v[106:107], v[68:69], v[60:61]
	v_add_f64 v[96:97], v[96:97], v[64:65]
	;; [unrolled: 1-line block ×6, first 2 shown]
	v_add_f64 v[60:61], v[106:107], -v[52:53]
	v_add_f64 v[70:71], v[96:97], -v[100:101]
	v_add_f64 v[62:63], v[58:59], v[98:99]
	v_add_f64 v[64:65], v[48:49], v[50:51]
	;; [unrolled: 1-line block ×3, first 2 shown]
	v_add_f64 v[58:59], v[98:99], -v[58:59]
	v_add_f64 v[52:53], v[50:51], -v[48:49]
	v_add_f64 v[50:51], v[100:101], v[96:97]
	v_add_f64 v[96:97], v[84:85], v[92:93]
	;; [unrolled: 1-line block ×3, first 2 shown]
	v_add_f64 v[84:85], v[84:85], -v[92:93]
	v_add_f64 v[86:87], v[86:87], -v[94:95]
	v_add_f64 v[92:93], v[80:81], v[88:89]
	v_add_f64 v[94:95], v[82:83], v[90:91]
	v_add_f64 v[80:81], v[80:81], -v[88:89]
	v_add_f64 v[82:83], v[82:83], -v[90:91]
	v_add_f64 v[88:89], v[72:73], v[76:77]
	v_add_f64 v[90:91], v[74:75], v[78:79]
	v_add_f64 v[72:73], v[76:77], -v[72:73]
	v_add_f64 v[74:75], v[78:79], -v[74:75]
	v_add_f64 v[68:69], v[102:103], v[104:105]
	v_add_f64 v[66:67], v[108:109], -v[54:55]
	v_add_f64 v[54:55], v[54:55], v[108:109]
	v_add_f64 v[48:49], v[104:105], -v[102:103]
	v_add_f64 v[76:77], v[92:93], v[96:97]
	v_add_f64 v[78:79], v[94:95], v[98:99]
	v_add_f64 v[100:101], v[92:93], -v[96:97]
	v_add_f64 v[102:103], v[94:95], -v[98:99]
	v_add_f64 v[96:97], v[96:97], -v[88:89]
	v_add_f64 v[98:99], v[98:99], -v[90:91]
	v_add_f64 v[92:93], v[88:89], -v[92:93]
	v_add_f64 v[94:95], v[90:91], -v[94:95]
	v_add_f64 v[104:105], v[72:73], v[80:81]
	v_add_f64 v[106:107], v[74:75], v[82:83]
	v_add_f64 v[108:109], v[72:73], -v[80:81]
	v_add_f64 v[110:111], v[74:75], -v[82:83]
	;; [unrolled: 1-line block ×6, first 2 shown]
	v_add_f64 v[76:77], v[88:89], v[76:77]
	v_add_f64 v[78:79], v[90:91], v[78:79]
	v_mul_f64 v[88:89], v[96:97], s[0:1]
	v_mul_f64 v[90:91], v[98:99], s[0:1]
	;; [unrolled: 1-line block ×4, first 2 shown]
	v_add_f64 v[84:85], v[104:105], v[84:85]
	v_add_f64 v[86:87], v[106:107], v[86:87]
	v_mul_f64 v[104:105], v[108:109], s[14:15]
	v_mul_f64 v[106:107], v[110:111], s[14:15]
	;; [unrolled: 1-line block ×4, first 2 shown]
	v_add_f64 v[12:13], v[12:13], v[76:77]
	v_add_f64 v[14:15], v[14:15], v[78:79]
	v_fma_f64 v[92:93], v[92:93], s[4:5], v[88:89]
	v_fma_f64 v[94:95], v[94:95], s[4:5], v[90:91]
	v_fma_f64 v[96:97], v[100:101], s[16:17], -v[96:97]
	v_fma_f64 v[98:99], v[102:103], s[16:17], -v[98:99]
	;; [unrolled: 1-line block ×4, first 2 shown]
	v_fma_f64 v[100:101], v[72:73], s[20:21], v[104:105]
	v_fma_f64 v[102:103], v[74:75], s[20:21], v[106:107]
	v_fma_f64 v[72:73], v[72:73], s[22:23], -v[108:109]
	v_fma_f64 v[74:75], v[74:75], s[22:23], -v[110:111]
	;; [unrolled: 1-line block ×4, first 2 shown]
	v_fma_f64 v[76:77], v[76:77], s[12:13], v[12:13]
	v_fma_f64 v[78:79], v[78:79], s[12:13], v[14:15]
	;; [unrolled: 1-line block ×8, first 2 shown]
	v_add_f64 v[92:93], v[92:93], v[76:77]
	v_add_f64 v[94:95], v[94:95], v[78:79]
	;; [unrolled: 1-line block ×7, first 2 shown]
	v_add_f64 v[74:75], v[94:95], -v[100:101]
	v_add_f64 v[76:77], v[110:111], v[88:89]
	v_add_f64 v[78:79], v[90:91], -v[108:109]
	v_add_f64 v[80:81], v[96:97], -v[106:107]
	v_add_f64 v[82:83], v[104:105], v[98:99]
	v_add_f64 v[84:85], v[106:107], v[96:97]
	v_add_f64 v[86:87], v[98:99], -v[104:105]
	v_add_f64 v[88:89], v[88:89], -v[110:111]
	v_add_f64 v[90:91], v[108:109], v[90:91]
	v_add_f64 v[92:93], v[92:93], -v[102:103]
	v_add_f64 v[94:95], v[100:101], v[94:95]
	ds_write_b128 v112, v[16:19]
	ds_write_b128 v112, v[44:47] offset:3456
	ds_write_b128 v112, v[40:43] offset:6912
	;; [unrolled: 1-line block ×20, first 2 shown]
	s_and_saveexec_b32 s26, vcc_lo
	s_cbranch_execz .LBB0_9
; %bb.8:
	s_clause 0x17
	buffer_load_dword v56, off, s[28:31], 0 offset:1680
	buffer_load_dword v57, off, s[28:31], 0 offset:1684
	;; [unrolled: 1-line block ×24, first 2 shown]
	s_waitcnt vmcnt(20)
	v_mul_f64 v[12:13], v[58:59], v[224:225]
	s_waitcnt vmcnt(16)
	v_mul_f64 v[14:15], v[46:47], v[4:5]
	;; [unrolled: 2-line block ×4, first 2 shown]
	v_mul_f64 v[20:21], v[46:47], v[6:7]
	v_mul_f64 v[22:23], v[58:59], v[226:227]
	;; [unrolled: 1-line block ×4, first 2 shown]
	s_waitcnt vmcnt(4)
	v_mul_f64 v[28:29], v[38:39], v[218:219]
	s_waitcnt vmcnt(0)
	v_mul_f64 v[30:31], v[42:43], v[214:215]
	v_mul_f64 v[32:33], v[42:43], v[212:213]
	;; [unrolled: 1-line block ×3, first 2 shown]
	v_fma_f64 v[12:13], v[56:57], v[226:227], -v[12:13]
	v_fma_f64 v[6:7], v[44:45], v[6:7], -v[14:15]
	v_fma_f64 v[14:15], v[52:53], v[222:223], -v[16:17]
	v_fma_f64 v[10:11], v[48:49], v[10:11], -v[18:19]
	v_fma_f64 v[4:5], v[44:45], v[4:5], v[20:21]
	v_fma_f64 v[16:17], v[56:57], v[224:225], v[22:23]
	;; [unrolled: 1-line block ×6, first 2 shown]
	v_fma_f64 v[24:25], v[40:41], v[214:215], -v[32:33]
	v_fma_f64 v[26:27], v[36:37], v[218:219], -v[34:35]
	v_add_f64 v[28:29], v[6:7], v[12:13]
	v_add_f64 v[6:7], v[6:7], -v[12:13]
	v_add_f64 v[30:31], v[10:11], v[14:15]
	v_add_f64 v[10:11], v[10:11], -v[14:15]
	;; [unrolled: 2-line block ×4, first 2 shown]
	v_add_f64 v[36:37], v[20:21], -v[22:23]
	v_add_f64 v[20:21], v[22:23], v[20:21]
	v_add_f64 v[18:19], v[24:25], v[26:27]
	v_add_f64 v[22:23], v[26:27], -v[24:25]
	v_add_f64 v[16:17], v[30:31], v[28:29]
	v_add_f64 v[42:43], v[10:11], -v[6:7]
	;; [unrolled: 2-line block ×3, first 2 shown]
	v_add_f64 v[14:15], v[36:37], -v[8:9]
	v_add_f64 v[26:27], v[32:33], -v[20:21]
	;; [unrolled: 1-line block ×5, first 2 shown]
	v_add_f64 v[8:9], v[36:37], v[8:9]
	v_add_f64 v[10:11], v[22:23], v[10:11]
	v_add_f64 v[22:23], v[6:7], -v[22:23]
	v_add_f64 v[28:29], v[30:31], -v[28:29]
	;; [unrolled: 1-line block ×3, first 2 shown]
	v_add_f64 v[16:17], v[18:19], v[16:17]
	v_add_f64 v[18:19], v[18:19], -v[30:31]
	v_mul_f64 v[46:47], v[42:43], s[6:7]
	v_add_f64 v[12:13], v[20:21], v[12:13]
	v_add_f64 v[20:21], v[20:21], -v[34:35]
	v_mul_f64 v[14:15], v[14:15], s[14:15]
	v_mul_f64 v[26:27], v[26:27], s[0:1]
	v_mul_f64 v[24:25], v[24:25], s[0:1]
	v_mul_f64 v[36:37], v[38:39], s[6:7]
	v_mul_f64 v[40:41], v[40:41], s[14:15]
	v_add_f64 v[4:5], v[8:9], v[4:5]
	v_add_f64 v[6:7], v[10:11], v[6:7]
	;; [unrolled: 1-line block ×3, first 2 shown]
	v_mul_f64 v[30:31], v[18:19], s[4:5]
	v_add_f64 v[0:1], v[0:1], v[12:13]
	v_mul_f64 v[34:35], v[20:21], s[4:5]
	v_fma_f64 v[8:9], v[44:45], s[20:21], v[14:15]
	v_fma_f64 v[14:15], v[38:39], s[6:7], -v[14:15]
	v_fma_f64 v[10:11], v[18:19], s[4:5], v[24:25]
	v_fma_f64 v[18:19], v[20:21], s[4:5], v[26:27]
	v_fma_f64 v[20:21], v[44:45], s[22:23], -v[36:37]
	v_fma_f64 v[24:25], v[28:29], s[18:19], -v[24:25]
	;; [unrolled: 1-line block ×4, first 2 shown]
	v_fma_f64 v[16:17], v[16:17], s[12:13], v[2:3]
	v_fma_f64 v[28:29], v[28:29], s[16:17], -v[30:31]
	v_fma_f64 v[30:31], v[22:23], s[20:21], v[40:41]
	v_fma_f64 v[22:23], v[22:23], s[22:23], -v[46:47]
	;; [unrolled: 2-line block ×3, first 2 shown]
	v_fma_f64 v[8:9], v[4:5], s[24:25], v[8:9]
	v_fma_f64 v[20:21], v[4:5], s[24:25], v[20:21]
	v_fma_f64 v[4:5], v[4:5], s[24:25], v[14:15]
	v_fma_f64 v[36:37], v[6:7], s[24:25], v[36:37]
	v_add_f64 v[34:35], v[10:11], v[16:17]
	v_add_f64 v[24:25], v[24:25], v[16:17]
	;; [unrolled: 1-line block ×3, first 2 shown]
	v_fma_f64 v[28:29], v[6:7], s[24:25], v[30:31]
	v_add_f64 v[38:39], v[18:19], v[12:13]
	v_fma_f64 v[30:31], v[6:7], s[24:25], v[22:23]
	v_add_f64 v[40:41], v[26:27], v[12:13]
	v_add_f64 v[12:13], v[32:33], v[12:13]
	v_add_f64 v[26:27], v[34:35], -v[8:9]
	v_add_f64 v[10:11], v[20:21], v[24:25]
	v_add_f64 v[22:23], v[24:25], -v[20:21]
	v_add_f64 v[14:15], v[16:17], -v[4:5]
	v_add_f64 v[24:25], v[28:29], v[38:39]
	v_add_f64 v[18:19], v[4:5], v[16:17]
	;; [unrolled: 1-line block ×3, first 2 shown]
	v_add_f64 v[16:17], v[12:13], -v[36:37]
	v_add_f64 v[12:13], v[36:37], v[12:13]
	v_add_f64 v[6:7], v[8:9], v[34:35]
	v_add_f64 v[8:9], v[40:41], -v[30:31]
	v_add_f64 v[4:5], v[38:39], -v[28:29]
	ds_write_b128 v112, v[0:3] offset:3024
	ds_write_b128 v112, v[24:27] offset:6480
	;; [unrolled: 1-line block ×7, first 2 shown]
.LBB0_9:
	s_or_b32 exec_lo, exec_lo, s26
	s_waitcnt lgkmcnt(0)
	s_barrier
	buffer_gl0_inv
	ds_read_b128 v[0:3], v112
	ds_read_b128 v[4:7], v112 offset:12096
	ds_read_b128 v[8:11], v112 offset:1008
	s_clause 0x1
	buffer_load_dword v12, off, s[28:31], 0 offset:48
	buffer_load_dword v13, off, s[28:31], 0 offset:52
	v_mad_u64_u32 v[34:35], null, s8, v113, 0
	s_mov_b32 s0, 0x6b015ac0
	s_mov_b32 s1, 0x3f45ac05
	s_mul_i32 s5, s9, 0x2f40
	s_mul_hi_u32 s6, s8, 0x2f40
	s_mul_i32 s4, s8, 0x2f40
	v_mov_b32_e32 v20, v35
	v_mad_u64_u32 v[48:49], null, s9, v113, v[20:21]
	v_mov_b32_e32 v35, v48
	v_lshlrev_b64 v[34:35], 4, v[34:35]
	s_waitcnt vmcnt(1)
	v_mov_b32_e32 v17, v12
	s_waitcnt vmcnt(0)
	ds_read_b128 v[12:15], v112 offset:13104
	s_clause 0xb
	buffer_load_dword v57, off, s[28:31], 0 offset:32
	buffer_load_dword v58, off, s[28:31], 0 offset:36
	;; [unrolled: 1-line block ×12, first 2 shown]
	v_mad_u64_u32 v[32:33], null, s10, v17, 0
	ds_read_b128 v[20:23], v112 offset:3024
	v_mov_b32_e32 v16, v33
	v_mad_u64_u32 v[24:25], null, s11, v17, v[16:17]
	ds_read_b128 v[16:19], v112 offset:2016
	v_mov_b32_e32 v33, v24
	ds_read_b128 v[24:27], v112 offset:14112
	ds_read_b128 v[28:31], v112 offset:15120
	v_lshlrev_b64 v[32:33], 4, v[32:33]
	s_waitcnt vmcnt(8) lgkmcnt(7)
	v_mul_f64 v[36:37], v[59:60], v[2:3]
	v_mul_f64 v[38:39], v[59:60], v[0:1]
	s_waitcnt vmcnt(0) lgkmcnt(5)
	v_mul_f64 v[44:45], v[55:56], v[10:11]
	v_mul_f64 v[46:47], v[55:56], v[8:9]
	s_clause 0x3
	buffer_load_dword v59, off, s[28:31], 0 offset:360
	buffer_load_dword v60, off, s[28:31], 0 offset:364
	;; [unrolled: 1-line block ×4, first 2 shown]
	v_mul_f64 v[40:41], v[65:66], v[6:7]
	v_mul_f64 v[42:43], v[65:66], v[4:5]
	v_fma_f64 v[0:1], v[57:58], v[0:1], v[36:37]
	v_fma_f64 v[2:3], v[57:58], v[2:3], -v[38:39]
	v_fma_f64 v[8:9], v[53:54], v[8:9], v[44:45]
	v_fma_f64 v[10:11], v[53:54], v[10:11], -v[46:47]
	s_clause 0x3
	buffer_load_dword v53, off, s[28:31], 0
	buffer_load_dword v54, off, s[28:31], 0 offset:4
	buffer_load_dword v55, off, s[28:31], 0 offset:8
	buffer_load_dword v56, off, s[28:31], 0 offset:12
	v_add_co_u32 v38, vcc_lo, s2, v32
	v_add_co_ci_u32_e32 v39, vcc_lo, s3, v33, vcc_lo
	v_fma_f64 v[4:5], v[63:64], v[4:5], v[40:41]
	v_fma_f64 v[6:7], v[63:64], v[6:7], -v[42:43]
	v_add_co_u32 v34, vcc_lo, v38, v34
	v_add_co_ci_u32_e32 v35, vcc_lo, v39, v35, vcc_lo
	s_add_i32 s2, s6, s5
	s_mul_hi_u32 s5, s8, 0xffffd4b0
	v_add_co_u32 v38, vcc_lo, v34, s4
	s_mul_i32 s3, s9, 0xffffd4b0
	s_sub_i32 s5, s5, s8
	v_add_co_ci_u32_e32 v39, vcc_lo, s2, v35, vcc_lo
	v_mul_f64 v[0:1], v[0:1], s[0:1]
	v_mul_f64 v[2:3], v[2:3], s[0:1]
	;; [unrolled: 1-line block ×4, first 2 shown]
	s_add_i32 s3, s5, s3
	s_mul_i32 s5, s8, 0xffffd4b0
	v_mul_f64 v[4:5], v[4:5], s[0:1]
	v_mul_f64 v[6:7], v[6:7], s[0:1]
	s_waitcnt vmcnt(4) lgkmcnt(4)
	v_mul_f64 v[49:50], v[61:62], v[14:15]
	v_mul_f64 v[51:52], v[61:62], v[12:13]
	s_waitcnt vmcnt(0) lgkmcnt(2)
	v_mul_f64 v[36:37], v[55:56], v[18:19]
	v_mul_f64 v[32:33], v[55:56], v[16:17]
	s_clause 0x3
	buffer_load_dword v55, off, s[28:31], 0 offset:296
	buffer_load_dword v56, off, s[28:31], 0 offset:300
	;; [unrolled: 1-line block ×4, first 2 shown]
	v_fma_f64 v[40:41], v[59:60], v[12:13], v[49:50]
	v_fma_f64 v[46:47], v[59:60], v[14:15], -v[51:52]
	v_add_co_u32 v52, vcc_lo, v38, s5
	v_fma_f64 v[16:17], v[53:54], v[16:17], v[36:37]
	v_fma_f64 v[18:19], v[53:54], v[18:19], -v[32:33]
	v_add_co_ci_u32_e32 v53, vcc_lo, s3, v39, vcc_lo
	s_waitcnt vmcnt(0) lgkmcnt(1)
	v_mul_f64 v[42:43], v[57:58], v[26:27]
	v_mul_f64 v[44:45], v[57:58], v[24:25]
	s_clause 0x3
	buffer_load_dword v57, off, s[28:31], 0 offset:312
	buffer_load_dword v58, off, s[28:31], 0 offset:316
	;; [unrolled: 1-line block ×4, first 2 shown]
	v_fma_f64 v[24:25], v[55:56], v[24:25], v[42:43]
	v_fma_f64 v[26:27], v[55:56], v[26:27], -v[44:45]
	v_add_co_u32 v44, vcc_lo, v52, s4
	v_add_co_ci_u32_e32 v45, vcc_lo, s2, v53, vcc_lo
	v_mul_f64 v[24:25], v[24:25], s[0:1]
	v_mul_f64 v[26:27], v[26:27], s[0:1]
	s_waitcnt vmcnt(0)
	v_mul_f64 v[32:33], v[59:60], v[22:23]
	v_mul_f64 v[36:37], v[59:60], v[20:21]
	s_clause 0x3
	buffer_load_dword v59, off, s[28:31], 0 offset:328
	buffer_load_dword v60, off, s[28:31], 0 offset:332
	;; [unrolled: 1-line block ×4, first 2 shown]
	ds_read_b128 v[12:15], v112 offset:4032
	global_store_dwordx4 v[34:35], v[0:3], off
	global_store_dwordx4 v[38:39], v[4:7], off
	;; [unrolled: 1-line block ×3, first 2 shown]
	ds_read_b128 v[4:7], v112 offset:16128
	v_mul_f64 v[8:9], v[16:17], s[0:1]
	v_mul_f64 v[10:11], v[18:19], s[0:1]
	ds_read_b128 v[16:19], v112 offset:5040
	s_clause 0x3
	buffer_load_dword v64, off, s[28:31], 0 offset:248
	buffer_load_dword v65, off, s[28:31], 0 offset:252
	;; [unrolled: 1-line block ×4, first 2 shown]
	v_mul_f64 v[0:1], v[40:41], s[0:1]
	v_mul_f64 v[2:3], v[46:47], s[0:1]
	v_fma_f64 v[32:33], v[57:58], v[20:21], v[32:33]
	v_fma_f64 v[34:35], v[57:58], v[22:23], -v[36:37]
	ds_read_b128 v[20:23], v112 offset:17136
	s_clause 0x3
	buffer_load_dword v68, off, s[28:31], 0 offset:264
	buffer_load_dword v69, off, s[28:31], 0 offset:268
	;; [unrolled: 1-line block ×4, first 2 shown]
	ds_read_b128 v[36:39], v112 offset:18144
	v_mul_f64 v[32:33], v[32:33], s[0:1]
	v_mul_f64 v[34:35], v[34:35], s[0:1]
	s_waitcnt vmcnt(8) lgkmcnt(5)
	v_mul_f64 v[48:49], v[61:62], v[30:31]
	v_mul_f64 v[50:51], v[61:62], v[28:29]
	s_waitcnt vmcnt(4) lgkmcnt(4)
	v_mul_f64 v[46:47], v[66:67], v[14:15]
	v_fma_f64 v[40:41], v[59:60], v[28:29], v[48:49]
	v_fma_f64 v[42:43], v[59:60], v[30:31], -v[50:51]
	ds_read_b128 v[28:31], v112 offset:6048
	s_clause 0x3
	buffer_load_dword v84, off, s[28:31], 0 offset:216
	buffer_load_dword v85, off, s[28:31], 0 offset:220
	;; [unrolled: 1-line block ×4, first 2 shown]
	s_waitcnt vmcnt(4) lgkmcnt(4)
	v_mul_f64 v[52:53], v[70:71], v[6:7]
	v_mul_f64 v[54:55], v[70:71], v[4:5]
	;; [unrolled: 1-line block ×3, first 2 shown]
	v_fma_f64 v[46:47], v[64:65], v[12:13], v[46:47]
	v_add_co_u32 v48, vcc_lo, v44, s5
	v_add_co_ci_u32_e32 v49, vcc_lo, s3, v45, vcc_lo
	v_add_co_u32 v56, vcc_lo, v48, s4
	v_add_co_ci_u32_e32 v57, vcc_lo, s2, v49, vcc_lo
	;; [unrolled: 2-line block ×3, first 2 shown]
	v_mul_f64 v[40:41], v[40:41], s[0:1]
	v_mul_f64 v[42:43], v[42:43], s[0:1]
	v_add_co_u32 v76, vcc_lo, v58, s4
	v_fma_f64 v[52:53], v[68:69], v[4:5], v[52:53]
	v_fma_f64 v[54:55], v[68:69], v[6:7], -v[54:55]
	v_fma_f64 v[50:51], v[64:65], v[14:15], -v[50:51]
	v_add_co_ci_u32_e32 v77, vcc_lo, s2, v59, vcc_lo
	s_waitcnt vmcnt(0) lgkmcnt(3)
	v_mul_f64 v[60:61], v[86:87], v[18:19]
	v_mul_f64 v[62:63], v[86:87], v[16:17]
	s_clause 0x3
	buffer_load_dword v86, off, s[28:31], 0 offset:232
	buffer_load_dword v87, off, s[28:31], 0 offset:236
	;; [unrolled: 1-line block ×4, first 2 shown]
	ds_read_b128 v[4:7], v112 offset:7056
	s_clause 0x3
	buffer_load_dword v78, off, s[28:31], 0 offset:152
	buffer_load_dword v79, off, s[28:31], 0 offset:156
	;; [unrolled: 1-line block ×4, first 2 shown]
	ds_read_b128 v[12:15], v112 offset:19152
	v_fma_f64 v[16:17], v[84:85], v[16:17], v[60:61]
	v_fma_f64 v[18:19], v[84:85], v[18:19], -v[62:63]
	v_mul_f64 v[16:17], v[16:17], s[0:1]
	v_mul_f64 v[18:19], v[18:19], s[0:1]
	s_waitcnt vmcnt(4) lgkmcnt(4)
	v_mul_f64 v[64:65], v[88:89], v[22:23]
	v_mul_f64 v[66:67], v[88:89], v[20:21]
	s_waitcnt vmcnt(0) lgkmcnt(2)
	v_mul_f64 v[68:69], v[80:81], v[30:31]
	v_mul_f64 v[70:71], v[80:81], v[28:29]
	s_clause 0x3
	buffer_load_dword v80, off, s[28:31], 0 offset:184
	buffer_load_dword v81, off, s[28:31], 0 offset:188
	;; [unrolled: 1-line block ×4, first 2 shown]
	global_store_dwordx4 v[44:45], v[0:3], off
	global_store_dwordx4 v[48:49], v[8:11], off
	;; [unrolled: 1-line block ×5, first 2 shown]
	v_mul_f64 v[8:9], v[52:53], s[0:1]
	v_mul_f64 v[10:11], v[54:55], s[0:1]
	s_clause 0x3
	buffer_load_dword v52, off, s[28:31], 0 offset:344
	buffer_load_dword v53, off, s[28:31], 0 offset:348
	;; [unrolled: 1-line block ×4, first 2 shown]
	v_mul_f64 v[0:1], v[46:47], s[0:1]
	v_mul_f64 v[2:3], v[50:51], s[0:1]
	v_add_co_u32 v40, vcc_lo, v76, s5
	v_add_co_ci_u32_e32 v41, vcc_lo, s3, v77, vcc_lo
	v_add_co_u32 v42, vcc_lo, v40, s4
	v_add_co_ci_u32_e32 v43, vcc_lo, s2, v41, vcc_lo
	v_add_co_u32 v44, vcc_lo, v42, s5
	v_fma_f64 v[20:21], v[86:87], v[20:21], v[64:65]
	v_fma_f64 v[22:23], v[86:87], v[22:23], -v[66:67]
	v_fma_f64 v[28:29], v[78:79], v[28:29], v[68:69]
	v_fma_f64 v[30:31], v[78:79], v[30:31], -v[70:71]
	v_add_co_ci_u32_e32 v45, vcc_lo, s3, v43, vcc_lo
	v_add_co_u32 v50, vcc_lo, v44, s4
	v_add_co_ci_u32_e32 v51, vcc_lo, s2, v45, vcc_lo
	v_mul_f64 v[20:21], v[20:21], s[0:1]
	v_mul_f64 v[22:23], v[22:23], s[0:1]
	;; [unrolled: 1-line block ×4, first 2 shown]
	s_waitcnt vmcnt(4)
	v_mul_f64 v[72:73], v[82:83], v[38:39]
	v_mul_f64 v[74:75], v[82:83], v[36:37]
	v_fma_f64 v[32:33], v[80:81], v[36:37], v[72:73]
	v_fma_f64 v[34:35], v[80:81], v[38:39], -v[74:75]
	s_waitcnt vmcnt(0) lgkmcnt(1)
	v_mul_f64 v[36:37], v[54:55], v[6:7]
	v_mul_f64 v[38:39], v[54:55], v[4:5]
	s_clause 0x3
	buffer_load_dword v54, off, s[28:31], 0 offset:280
	buffer_load_dword v55, off, s[28:31], 0 offset:284
	;; [unrolled: 1-line block ×4, first 2 shown]
	global_store_dwordx4 v[40:41], v[0:3], off
	ds_read_b128 v[24:27], v112 offset:8064
	ds_read_b128 v[0:3], v112 offset:9072
	v_mul_f64 v[32:33], v[32:33], s[0:1]
	v_mul_f64 v[34:35], v[34:35], s[0:1]
	v_fma_f64 v[36:37], v[52:53], v[4:5], v[36:37]
	v_fma_f64 v[38:39], v[52:53], v[6:7], -v[38:39]
	ds_read_b128 v[4:7], v112 offset:20160
	s_clause 0x3
	buffer_load_dword v62, off, s[28:31], 0 offset:200
	buffer_load_dword v63, off, s[28:31], 0 offset:204
	;; [unrolled: 1-line block ×4, first 2 shown]
	v_add_co_u32 v52, vcc_lo, v50, s5
	v_add_co_ci_u32_e32 v53, vcc_lo, s3, v51, vcc_lo
	v_add_co_u32 v40, vcc_lo, v52, s4
	v_add_co_ci_u32_e32 v41, vcc_lo, s2, v53, vcc_lo
	global_store_dwordx4 v[42:43], v[8:11], off
	global_store_dwordx4 v[44:45], v[16:19], off
	;; [unrolled: 1-line block ×5, first 2 shown]
	v_add_co_u32 v40, vcc_lo, v40, s5
	v_add_co_ci_u32_e32 v41, vcc_lo, s3, v41, vcc_lo
	v_mul_f64 v[8:9], v[36:37], s[0:1]
	v_mul_f64 v[10:11], v[38:39], s[0:1]
	v_add_co_u32 v50, vcc_lo, v40, s4
	v_add_co_ci_u32_e32 v51, vcc_lo, s2, v41, vcc_lo
	s_waitcnt vmcnt(4) lgkmcnt(3)
	v_mul_f64 v[46:47], v[56:57], v[14:15]
	v_mul_f64 v[48:49], v[56:57], v[12:13]
	v_fma_f64 v[46:47], v[54:55], v[12:13], v[46:47]
	v_fma_f64 v[48:49], v[54:55], v[14:15], -v[48:49]
	ds_read_b128 v[12:15], v112 offset:21168
	s_clause 0x3
	buffer_load_dword v58, off, s[28:31], 0 offset:168
	buffer_load_dword v59, off, s[28:31], 0 offset:172
	;; [unrolled: 1-line block ×4, first 2 shown]
	ds_read_b128 v[16:19], v112 offset:10080
	ds_read_b128 v[20:23], v112 offset:22176
	;; [unrolled: 1-line block ×4, first 2 shown]
	s_clause 0xf
	buffer_load_dword v88, off, s[28:31], 0 offset:136
	buffer_load_dword v89, off, s[28:31], 0 offset:140
	;; [unrolled: 1-line block ×16, first 2 shown]
	s_waitcnt vmcnt(20) lgkmcnt(7)
	v_mul_f64 v[54:55], v[64:65], v[26:27]
	v_mul_f64 v[56:57], v[64:65], v[24:25]
	;; [unrolled: 1-line block ×4, first 2 shown]
	v_fma_f64 v[24:25], v[62:63], v[24:25], v[54:55]
	v_fma_f64 v[26:27], v[62:63], v[26:27], -v[56:57]
	s_waitcnt vmcnt(16) lgkmcnt(5)
	v_mul_f64 v[42:43], v[60:61], v[6:7]
	v_mul_f64 v[44:45], v[60:61], v[4:5]
	s_waitcnt vmcnt(12)
	v_mul_f64 v[46:47], v[90:91], v[2:3]
	s_waitcnt vmcnt(8) lgkmcnt(4)
	v_mul_f64 v[52:53], v[78:79], v[14:15]
	v_mul_f64 v[54:55], v[78:79], v[12:13]
	s_waitcnt vmcnt(0) lgkmcnt(2)
	v_mul_f64 v[60:61], v[84:85], v[22:23]
	v_mul_f64 v[62:63], v[84:85], v[20:21]
	s_clause 0x7
	buffer_load_dword v84, off, s[28:31], 0 offset:120
	buffer_load_dword v85, off, s[28:31], 0 offset:124
	;; [unrolled: 1-line block ×8, first 2 shown]
	v_mul_f64 v[48:49], v[90:91], v[0:1]
	v_mul_f64 v[56:57], v[74:75], v[18:19]
	global_store_dwordx4 v[40:41], v[8:11], off
	global_store_dwordx4 v[50:51], v[32:35], off
	v_add_co_u32 v32, vcc_lo, v50, s5
	v_add_co_ci_u32_e32 v33, vcc_lo, s3, v51, vcc_lo
	v_add_co_u32 v34, vcc_lo, v32, s4
	v_add_co_ci_u32_e32 v35, vcc_lo, s2, v33, vcc_lo
	v_fma_f64 v[42:43], v[58:59], v[4:5], v[42:43]
	v_fma_f64 v[44:45], v[58:59], v[6:7], -v[44:45]
	v_mul_f64 v[58:59], v[74:75], v[16:17]
	v_fma_f64 v[8:9], v[88:89], v[0:1], v[46:47]
	v_fma_f64 v[12:13], v[76:77], v[12:13], v[52:53]
	v_fma_f64 v[14:15], v[76:77], v[14:15], -v[54:55]
	v_fma_f64 v[20:21], v[82:83], v[20:21], v[60:61]
	v_fma_f64 v[22:23], v[82:83], v[22:23], -v[62:63]
	v_mul_f64 v[4:5], v[24:25], s[0:1]
	v_mul_f64 v[6:7], v[26:27], s[0:1]
	v_fma_f64 v[10:11], v[88:89], v[2:3], -v[48:49]
	v_fma_f64 v[16:17], v[72:73], v[16:17], v[56:57]
	v_mul_f64 v[0:1], v[42:43], s[0:1]
	v_mul_f64 v[2:3], v[44:45], s[0:1]
	v_fma_f64 v[18:19], v[72:73], v[18:19], -v[58:59]
	v_mul_f64 v[8:9], v[8:9], s[0:1]
	v_mul_f64 v[12:13], v[12:13], s[0:1]
	v_mul_f64 v[14:15], v[14:15], s[0:1]
	v_mul_f64 v[20:21], v[20:21], s[0:1]
	v_mul_f64 v[22:23], v[22:23], s[0:1]
	global_store_dwordx4 v[32:33], v[4:7], off
	v_mul_f64 v[10:11], v[10:11], s[0:1]
	v_mul_f64 v[16:17], v[16:17], s[0:1]
	global_store_dwordx4 v[34:35], v[0:3], off
	v_mul_f64 v[18:19], v[18:19], s[0:1]
	s_waitcnt vmcnt(4) lgkmcnt(1)
	v_mul_f64 v[64:65], v[86:87], v[30:31]
	v_mul_f64 v[66:67], v[86:87], v[28:29]
	s_waitcnt vmcnt(0) lgkmcnt(0)
	v_mul_f64 v[68:69], v[80:81], v[38:39]
	v_mul_f64 v[70:71], v[80:81], v[36:37]
	v_fma_f64 v[24:25], v[84:85], v[28:29], v[64:65]
	v_fma_f64 v[26:27], v[84:85], v[30:31], -v[66:67]
	v_fma_f64 v[28:29], v[78:79], v[36:37], v[68:69]
	v_fma_f64 v[30:31], v[78:79], v[38:39], -v[70:71]
	v_add_co_u32 v36, vcc_lo, v34, s5
	v_add_co_ci_u32_e32 v37, vcc_lo, s3, v35, vcc_lo
	v_add_co_u32 v38, vcc_lo, v36, s4
	v_add_co_ci_u32_e32 v39, vcc_lo, s2, v37, vcc_lo
	global_store_dwordx4 v[36:37], v[8:11], off
	v_add_co_u32 v40, vcc_lo, v38, s5
	v_add_co_ci_u32_e32 v41, vcc_lo, s3, v39, vcc_lo
	v_add_co_u32 v4, vcc_lo, v40, s4
	v_add_co_ci_u32_e32 v5, vcc_lo, s2, v41, vcc_lo
	v_mul_f64 v[24:25], v[24:25], s[0:1]
	v_mul_f64 v[26:27], v[26:27], s[0:1]
	;; [unrolled: 1-line block ×4, first 2 shown]
	v_add_co_u32 v0, vcc_lo, v4, s5
	v_add_co_ci_u32_e32 v1, vcc_lo, s3, v5, vcc_lo
	v_add_co_u32 v2, vcc_lo, v0, s4
	v_add_co_ci_u32_e32 v3, vcc_lo, s2, v1, vcc_lo
	global_store_dwordx4 v[38:39], v[12:15], off
	global_store_dwordx4 v[40:41], v[16:19], off
	;; [unrolled: 1-line block ×5, first 2 shown]
.LBB0_10:
	s_endpgm
	.section	.rodata,"a",@progbits
	.p2align	6, 0x0
	.amdhsa_kernel bluestein_single_back_len1512_dim1_dp_op_CI_CI
		.amdhsa_group_segment_fixed_size 24192
		.amdhsa_private_segment_fixed_size 1700
		.amdhsa_kernarg_size 104
		.amdhsa_user_sgpr_count 6
		.amdhsa_user_sgpr_private_segment_buffer 1
		.amdhsa_user_sgpr_dispatch_ptr 0
		.amdhsa_user_sgpr_queue_ptr 0
		.amdhsa_user_sgpr_kernarg_segment_ptr 1
		.amdhsa_user_sgpr_dispatch_id 0
		.amdhsa_user_sgpr_flat_scratch_init 0
		.amdhsa_user_sgpr_private_segment_size 0
		.amdhsa_wavefront_size32 1
		.amdhsa_uses_dynamic_stack 0
		.amdhsa_system_sgpr_private_segment_wavefront_offset 1
		.amdhsa_system_sgpr_workgroup_id_x 1
		.amdhsa_system_sgpr_workgroup_id_y 0
		.amdhsa_system_sgpr_workgroup_id_z 0
		.amdhsa_system_sgpr_workgroup_info 0
		.amdhsa_system_vgpr_workitem_id 0
		.amdhsa_next_free_vgpr 256
		.amdhsa_next_free_sgpr 32
		.amdhsa_reserve_vcc 1
		.amdhsa_reserve_flat_scratch 0
		.amdhsa_float_round_mode_32 0
		.amdhsa_float_round_mode_16_64 0
		.amdhsa_float_denorm_mode_32 3
		.amdhsa_float_denorm_mode_16_64 3
		.amdhsa_dx10_clamp 1
		.amdhsa_ieee_mode 1
		.amdhsa_fp16_overflow 0
		.amdhsa_workgroup_processor_mode 1
		.amdhsa_memory_ordered 1
		.amdhsa_forward_progress 0
		.amdhsa_shared_vgpr_count 0
		.amdhsa_exception_fp_ieee_invalid_op 0
		.amdhsa_exception_fp_denorm_src 0
		.amdhsa_exception_fp_ieee_div_zero 0
		.amdhsa_exception_fp_ieee_overflow 0
		.amdhsa_exception_fp_ieee_underflow 0
		.amdhsa_exception_fp_ieee_inexact 0
		.amdhsa_exception_int_div_zero 0
	.end_amdhsa_kernel
	.text
.Lfunc_end0:
	.size	bluestein_single_back_len1512_dim1_dp_op_CI_CI, .Lfunc_end0-bluestein_single_back_len1512_dim1_dp_op_CI_CI
                                        ; -- End function
	.section	.AMDGPU.csdata,"",@progbits
; Kernel info:
; codeLenInByte = 42916
; NumSgprs: 34
; NumVgprs: 256
; ScratchSize: 1700
; MemoryBound: 0
; FloatMode: 240
; IeeeMode: 1
; LDSByteSize: 24192 bytes/workgroup (compile time only)
; SGPRBlocks: 4
; VGPRBlocks: 31
; NumSGPRsForWavesPerEU: 34
; NumVGPRsForWavesPerEU: 256
; Occupancy: 3
; WaveLimiterHint : 1
; COMPUTE_PGM_RSRC2:SCRATCH_EN: 1
; COMPUTE_PGM_RSRC2:USER_SGPR: 6
; COMPUTE_PGM_RSRC2:TRAP_HANDLER: 0
; COMPUTE_PGM_RSRC2:TGID_X_EN: 1
; COMPUTE_PGM_RSRC2:TGID_Y_EN: 0
; COMPUTE_PGM_RSRC2:TGID_Z_EN: 0
; COMPUTE_PGM_RSRC2:TIDIG_COMP_CNT: 0
	.text
	.p2alignl 6, 3214868480
	.fill 48, 4, 3214868480
	.type	__hip_cuid_6ce99cc761b93385,@object ; @__hip_cuid_6ce99cc761b93385
	.section	.bss,"aw",@nobits
	.globl	__hip_cuid_6ce99cc761b93385
__hip_cuid_6ce99cc761b93385:
	.byte	0                               ; 0x0
	.size	__hip_cuid_6ce99cc761b93385, 1

	.ident	"AMD clang version 19.0.0git (https://github.com/RadeonOpenCompute/llvm-project roc-6.4.0 25133 c7fe45cf4b819c5991fe208aaa96edf142730f1d)"
	.section	".note.GNU-stack","",@progbits
	.addrsig
	.addrsig_sym __hip_cuid_6ce99cc761b93385
	.amdgpu_metadata
---
amdhsa.kernels:
  - .args:
      - .actual_access:  read_only
        .address_space:  global
        .offset:         0
        .size:           8
        .value_kind:     global_buffer
      - .actual_access:  read_only
        .address_space:  global
        .offset:         8
        .size:           8
        .value_kind:     global_buffer
      - .actual_access:  read_only
        .address_space:  global
        .offset:         16
        .size:           8
        .value_kind:     global_buffer
      - .actual_access:  read_only
        .address_space:  global
        .offset:         24
        .size:           8
        .value_kind:     global_buffer
      - .actual_access:  read_only
        .address_space:  global
        .offset:         32
        .size:           8
        .value_kind:     global_buffer
      - .offset:         40
        .size:           8
        .value_kind:     by_value
      - .address_space:  global
        .offset:         48
        .size:           8
        .value_kind:     global_buffer
      - .address_space:  global
        .offset:         56
        .size:           8
        .value_kind:     global_buffer
      - .address_space:  global
        .offset:         64
        .size:           8
        .value_kind:     global_buffer
      - .address_space:  global
        .offset:         72
        .size:           8
        .value_kind:     global_buffer
      - .offset:         80
        .size:           4
        .value_kind:     by_value
      - .address_space:  global
        .offset:         88
        .size:           8
        .value_kind:     global_buffer
      - .address_space:  global
        .offset:         96
        .size:           8
        .value_kind:     global_buffer
    .group_segment_fixed_size: 24192
    .kernarg_segment_align: 8
    .kernarg_segment_size: 104
    .language:       OpenCL C
    .language_version:
      - 2
      - 0
    .max_flat_workgroup_size: 63
    .name:           bluestein_single_back_len1512_dim1_dp_op_CI_CI
    .private_segment_fixed_size: 1700
    .sgpr_count:     34
    .sgpr_spill_count: 0
    .symbol:         bluestein_single_back_len1512_dim1_dp_op_CI_CI.kd
    .uniform_work_group_size: 1
    .uses_dynamic_stack: false
    .vgpr_count:     256
    .vgpr_spill_count: 424
    .wavefront_size: 32
    .workgroup_processor_mode: 1
amdhsa.target:   amdgcn-amd-amdhsa--gfx1030
amdhsa.version:
  - 1
  - 2
...

	.end_amdgpu_metadata
